;; amdgpu-corpus repo=ROCm/rccl kind=compiled arch=gfx1030 opt=O3
	.amdgcn_target "amdgcn-amd-amdhsa--gfx1030"
	.amdhsa_code_object_version 6
	.text
	.p2align	2                               ; -- Begin function _ZN12_GLOBAL__N_17runRingI12rccl_bfloat88FuncProdIS1_E7ProtoLLLi0ELi1ELi0EEEviiP15ncclDevWorkColl
	.type	_ZN12_GLOBAL__N_17runRingI12rccl_bfloat88FuncProdIS1_E7ProtoLLLi0ELi1ELi0EEEviiP15ncclDevWorkColl,@function
_ZN12_GLOBAL__N_17runRingI12rccl_bfloat88FuncProdIS1_E7ProtoLLLi0ELi1ELi0EEEviiP15ncclDevWorkColl: ; @_ZN12_GLOBAL__N_17runRingI12rccl_bfloat88FuncProdIS1_E7ProtoLLLi0ELi1ELi0EEEviiP15ncclDevWorkColl
; %bb.0:
	s_waitcnt vmcnt(0) expcnt(0) lgkmcnt(0)
	buffer_store_dword v40, off, s[0:3], s32 offset:92 ; 4-byte Folded Spill
	buffer_store_dword v41, off, s[0:3], s32 offset:88 ; 4-byte Folded Spill
	;; [unrolled: 1-line block ×23, first 2 shown]
	buffer_store_dword v79, off, s[0:3], s32 ; 4-byte Folded Spill
	s_trap 2
	s_clause 0x2
	flat_load_dword v10, v[2:3]
	flat_load_dwordx4 v[6:9], v[2:3] offset:72
	flat_load_dwordx2 v[18:19], v[2:3] offset:88
	v_mov_b32_e32 v4, v0
                                        ; implicit-def: $vgpr26_vgpr27
	s_waitcnt vmcnt(2) lgkmcnt(2)
	v_not_b32_sdwa v0, v10 dst_sel:DWORD dst_unused:UNUSED_PAD src0_sel:BYTE_0
	ds_read_b32 v5, v0
	ds_read_b64 v[24:25], v0
	v_add_nc_u32_sdwa v11, v10, v0 dst_sel:DWORD dst_unused:UNUSED_PAD src0_sel:BYTE_1 src1_sel:DWORD
	v_ashrrev_i32_e32 v12, 31, v11
	s_waitcnt vmcnt(1) lgkmcnt(3)
	v_mul_lo_u32 v13, v9, v11
	v_mad_u64_u32 v[20:21], null, v8, v11, 0
	v_mul_lo_u32 v11, v8, v12
	v_add3_u32 v54, v21, v11, v13
	s_waitcnt lgkmcnt(1)
	v_readfirstlane_b32 s14, v5
	v_cmp_ne_u32_sdwa s4, v5, v10 src0_sel:DWORD src1_sel:BYTE_0
                                        ; implicit-def: $vgpr21_vgpr22
	s_and_saveexec_b32 s5, s4
	s_xor_b32 s4, exec_lo, s5
	s_cbranch_execz .LBB0_6
; %bb.1:
	v_cmp_ne_u32_sdwa s5, v5, v10 src0_sel:DWORD src1_sel:BYTE_1
                                        ; implicit-def: $vgpr21_vgpr22
                                        ; implicit-def: $vgpr26_vgpr27
	s_and_saveexec_b32 s6, s5
	s_xor_b32 s5, exec_lo, s6
	s_cbranch_execz .LBB0_3
; %bb.2:
	flat_load_dwordx2 v[10:11], v[2:3] offset:96
	v_add_nc_u32_e32 v0, v5, v0
	v_ashrrev_i32_e32 v5, 31, v0
	v_mul_lo_u32 v12, v9, v0
	v_mad_u64_u32 v[26:27], null, v8, v0, v[6:7]
	v_mul_lo_u32 v5, v8, v5
	v_add3_u32 v27, v12, v27, v5
	s_waitcnt vmcnt(0) lgkmcnt(0)
	v_lshrrev_b64 v[21:22], 17, v[10:11]
.LBB0_3:
	s_andn2_saveexec_b32 s5, s5
	s_cbranch_execz .LBB0_5
; %bb.4:
	flat_load_dword v0, v[2:3] offset:100
	v_add_co_u32 v26, vcc_lo, v20, v6
	s_waitcnt vmcnt(1)
	v_mov_b32_e32 v8, v18
	v_add_co_ci_u32_e64 v27, null, v54, v7, vcc_lo
	v_mov_b32_e32 v9, v19
	s_waitcnt vmcnt(0) lgkmcnt(0)
	v_lshrrev_b32_e32 v21, 6, v0
.LBB0_5:
	s_or_b32 exec_lo, exec_lo, s5
.LBB0_6:
	s_andn2_saveexec_b32 s4, s4
	s_cbranch_execz .LBB0_8
; %bb.7:
	flat_load_dwordx2 v[8:9], v[2:3] offset:96
	v_mov_b32_e32 v26, 0
	v_mov_b32_e32 v27, 0
	s_waitcnt vmcnt(0) lgkmcnt(0)
	v_lshlrev_b64 v[21:22], 4, v[8:9]
	v_mov_b32_e32 v9, v7
	v_mov_b32_e32 v8, v6
.LBB0_8:
	s_or_b32 exec_lo, exec_lo, s4
	s_load_dword s4, s[8:9], 0x0
	v_mov_b32_e32 v15, 0
	s_clause 0x1
	flat_load_ushort v17, v[2:3] offset:8
	flat_load_dword v16, v[2:3] offset:4
	v_ashrrev_i32_e32 v5, 31, v4
	v_mov_b32_e32 v28, 0
	v_mov_b32_e32 v29, 0
	s_mov_b32 s6, 0
	s_waitcnt lgkmcnt(0)
	s_cmp_lt_u32 s12, s4
	s_cselect_b32 s4, 12, 18
	s_add_u32 s4, s8, s4
	s_addc_u32 s5, s9, 0
	flat_load_dwordx4 v[10:13], v[2:3] offset:16
	global_load_ushort v0, v15, s[4:5]
	s_trap 2
	v_lshrrev_b32_e32 v2, 27, v5
	v_add_nc_u32_e32 v22, v4, v2
	s_waitcnt vmcnt(2)
	v_lshrrev_b64 v[2:3], 31, v[16:17]
	v_and_b32_e32 v3, 0xffffffe0, v22
	v_sub_nc_u32_e32 v30, v4, v3
	v_and_b32_e32 v2, 3, v2
	v_cmp_eq_u32_e64 s4, 0, v30
	v_and_b32_e32 v16, 0xffff, v2
	s_waitcnt vmcnt(0)
	ds_read_b32 v14, v0
	s_waitcnt lgkmcnt(0)
	v_cmp_gt_i32_e32 vcc_lo, 0, v14
	v_readfirstlane_b32 s5, v14
	s_cbranch_vccnz .LBB0_10
; %bb.9:
	s_trap 2
	ds_read_b64 v[2:3], v0
	v_lshlrev_b64 v[14:15], 3, v[14:15]
	s_mov_b32 s6, 1
	s_waitcnt lgkmcnt(0)
	v_add_co_u32 v2, vcc_lo, v2, v14
	v_add_co_ci_u32_e64 v3, null, v3, v15, vcc_lo
	flat_load_dwordx2 v[2:3], v[2:3]
	s_waitcnt vmcnt(0) lgkmcnt(0)
	v_mad_u64_u32 v[2:3], null, 0xa8, v16, v[2:3]
	s_clause 0x1
	flat_load_dwordx2 v[34:35], v[2:3] offset:504
	flat_load_dwordx2 v[36:37], v[2:3] offset:608
	v_add_co_u32 v32, vcc_lo, 0x1f8, v2
	v_add_co_ci_u32_e64 v33, null, 0, v3, vcc_lo
	v_cndmask_b32_e64 v2, 0, v32, s4
	v_cndmask_b32_e64 v3, 0, v33, s4
	s_branch .LBB0_11
.LBB0_10:
	v_mov_b32_e32 v32, 0
	v_mov_b32_e32 v2, 0
	;; [unrolled: 1-line block ×4, first 2 shown]
                                        ; implicit-def: $vgpr36_vgpr37
                                        ; implicit-def: $vgpr34_vgpr35
.LBB0_11:
	s_trap 2
	ds_read_b32 v14, v0
	s_waitcnt lgkmcnt(0)
	v_cmp_gt_i32_e32 vcc_lo, 0, v14
	s_cbranch_vccnz .LBB0_13
; %bb.12:
	s_trap 2
	ds_read_b64 v[22:23], v0
	v_mov_b32_e32 v15, 0
	v_lshlrev_b64 v[14:15], 3, v[14:15]
	s_waitcnt lgkmcnt(0)
	v_add_co_u32 v14, vcc_lo, v22, v14
	v_add_co_ci_u32_e64 v15, null, v23, v15, vcc_lo
	v_cmp_eq_u32_e32 vcc_lo, 0, v30
	flat_load_dwordx2 v[14:15], v[14:15]
	s_waitcnt vmcnt(0) lgkmcnt(0)
	v_mad_u64_u32 v[28:29], null, 0xa8, v16, v[14:15]
	s_clause 0x1
	flat_load_dwordx2 v[38:39], v[28:29]
	flat_load_dwordx2 v[22:23], v[28:29] offset:104
	v_cndmask_b32_e32 v17, 0, v29, vcc_lo
	v_cndmask_b32_e32 v16, 0, v28, vcc_lo
	s_branch .LBB0_14
.LBB0_13:
	v_mov_b32_e32 v16, 0
	v_mov_b32_e32 v17, 0
                                        ; implicit-def: $vgpr22_vgpr23
                                        ; implicit-def: $vgpr38_vgpr39
.LBB0_14:
	v_subrev_nc_u32_e32 v14, 32, v1
	v_cmp_gt_i32_e32 vcc_lo, s6, v30
	v_mov_b32_e32 v50, 0
	v_mov_b32_e32 v51, 0
                                        ; implicit-def: $vgpr48_vgpr49
	v_cmp_ge_i32_e64 s4, v4, v14
	v_mov_b32_e32 v14, 0
	v_mov_b32_e32 v15, 0
	s_and_b32 s16, s4, vcc_lo
	s_and_saveexec_b32 s4, s16
	s_cbranch_execz .LBB0_16
; %bb.15:
	s_clause 0x1
	flat_load_dwordx2 v[50:51], v[2:3] offset:56
	flat_load_dwordx2 v[48:49], v[2:3] offset:104
.LBB0_16:
	s_or_b32 exec_lo, exec_lo, s4
	v_mov_b32_e32 v52, 0
	v_mov_b32_e32 v53, 0
	v_cmp_gt_i32_e64 s4, s6, v4
                                        ; implicit-def: $vgpr64_vgpr65
	s_and_saveexec_b32 s6, s4
	s_cbranch_execz .LBB0_18
; %bb.17:
	flat_load_dwordx2 v[52:53], v[16:17] offset:56
	s_waitcnt vmcnt(0) lgkmcnt(0)
	flat_load_dwordx2 v[64:65], v[52:53] glc dlc
	s_waitcnt vmcnt(0)
	flat_load_dwordx4 v[14:17], v[16:17] offset:96
.LBB0_18:
	s_or_b32 exec_lo, exec_lo, s6
	v_mov_b32_e32 v2, 0
	v_mov_b32_e32 v3, 0
	s_mov_b32 s17, exec_lo
	v_cmpx_ne_u64_e32 0, v[8:9]
	s_cbranch_execnz .LBB0_34
; %bb.19:
	s_or_b32 exec_lo, exec_lo, s17
	s_and_saveexec_b32 s5, s16
	s_cbranch_execnz .LBB0_608
.LBB0_20:
	s_or_b32 exec_lo, exec_lo, s5
	s_and_saveexec_b32 s5, s4
	s_cbranch_execz .LBB0_22
.LBB0_21:
	s_waitcnt vmcnt(0) lgkmcnt(0)
	flat_store_dwordx2 v[28:29], v[16:17] offset:104
.LBB0_22:
	s_or_b32 exec_lo, exec_lo, s5
	s_mov_b32 s4, exec_lo
	v_cmpx_ne_u32_e32 32, v1
	s_cbranch_execz .LBB0_615
; %bb.23:
	v_cmp_ne_u32_sdwa s5, v1, v0 src0_sel:DWORD src1_sel:WORD_0
	s_and_saveexec_b32 s6, s5
	s_xor_b32 s5, exec_lo, s6
	s_cbranch_execz .LBB0_613
; %bb.24:
	v_and_b32_e32 v0, 31, v31
	s_mov_b32 s6, exec_lo
	v_cmpx_eq_u32_e32 0, v0
	s_cbranch_execz .LBB0_612
; %bb.25:
	s_mov_b32 s8, exec_lo
	s_mov_b32 s7, exec_lo
	v_mbcnt_lo_u32_b32 v0, s8, 0
	s_waitcnt vmcnt(0) lgkmcnt(0)
	s_waitcnt_vscnt null, 0x0
	buffer_gl1_inv
	buffer_gl0_inv
	v_cmpx_eq_u32_e32 0, v0
	s_cbranch_execz .LBB0_27
; %bb.26:
	s_bcnt1_i32_b32 s8, s8
	v_mov_b32_e32 v5, 0
	v_mov_b32_e32 v4, s8
	ds_add_u64 v0, v[4:5]
	s_trap 2
.LBB0_27:
	s_or_b32 exec_lo, exec_lo, s7
	s_trap 2
	ds_read_b64 v[4:5], v0
	s_waitcnt lgkmcnt(0)
	buffer_gl0_inv
	v_lshrrev_b32_e32 v0, 5, v1
	s_mov_b32 s7, exec_lo
	v_add_co_u32 v0, vcc_lo, v2, v0
	v_add_co_ci_u32_e64 v1, null, 0, v3, vcc_lo
	v_cmpx_lt_u64_e64 v[4:5], v[0:1]
	s_cbranch_execz .LBB0_611
; %bb.28:
	s_mov_b32 s8, 0
	s_mov_b32 s11, 0
                                        ; implicit-def: $sgpr9
                                        ; implicit-def: $sgpr10
	s_inst_prefetch 0x1
	s_branch .LBB0_30
	.p2align	6
.LBB0_29:                               ;   in Loop: Header=BB0_30 Depth=1
	s_or_b32 exec_lo, exec_lo, s13
	s_and_b32 s12, exec_lo, s14
	s_or_b32 s8, s12, s8
	s_andn2_b32 s9, s9, exec_lo
	s_and_b32 s12, s10, exec_lo
	s_or_b32 s9, s9, s12
	s_andn2_b32 exec_lo, exec_lo, s8
	s_cbranch_execz .LBB0_609
.LBB0_30:                               ; =>This Inner Loop Header: Depth=1
	s_add_i32 s11, s11, 1
	s_cmpk_lg_i32 s11, 0x2710
	s_cselect_b32 s12, -1, 0
	s_and_b32 vcc_lo, exec_lo, s12
	s_cbranch_vccz .LBB0_32
; %bb.31:                               ;   in Loop: Header=BB0_30 Depth=1
	s_mov_b32 s14, -1
	s_or_b32 s10, s10, exec_lo
	s_and_saveexec_b32 s13, s12
	s_cbranch_execz .LBB0_29
	s_branch .LBB0_33
	.p2align	6
.LBB0_32:                               ;   in Loop: Header=BB0_30 Depth=1
	s_trap 2
	ds_read_b64 v[2:3], v0
	s_andn2_b32 s12, s12, exec_lo
	s_mov_b32 s11, 0
	s_waitcnt lgkmcnt(0)
	flat_load_dword v2, v[2:3] glc dlc
	s_waitcnt vmcnt(0) lgkmcnt(0)
	buffer_gl1_inv
	buffer_gl0_inv
	v_cmp_eq_u32_e32 vcc_lo, 0, v2
	s_and_b32 s13, vcc_lo, exec_lo
	s_or_b32 s12, s12, s13
	s_mov_b32 s14, -1
	s_or_b32 s10, s10, exec_lo
	s_and_saveexec_b32 s13, s12
	s_cbranch_execz .LBB0_29
.LBB0_33:                               ;   in Loop: Header=BB0_30 Depth=1
	s_sleep 1
	s_trap 2
	ds_read_b64 v[2:3], v0
	s_waitcnt lgkmcnt(0)
	buffer_gl0_inv
	s_andn2_b32 s10, s10, exec_lo
	v_cmp_ge_u64_e32 vcc_lo, v[2:3], v[0:1]
	s_orn2_b32 s14, vcc_lo, exec_lo
	s_branch .LBB0_29
.LBB0_34:
	s_ashr_i32 s6, s5, 31
	s_ashr_i32 s15, s14, 31
	s_lshr_b32 s6, s6, 29
	v_add_co_u32 v2, vcc_lo, v18, v6
	s_add_i32 s5, s5, s6
	s_lshl_b64 s[6:7], s[14:15], 2
	v_lshlrev_b32_e32 v101, 3, v4
	v_add_co_ci_u32_e64 v3, null, v19, v7, vcc_lo
	v_add_co_u32 v6, vcc_lo, v24, s6
	v_add_co_ci_u32_e64 v7, null, s7, v25, vcc_lo
	v_add_co_u32 v30, vcc_lo, v2, v20
	v_ashrrev_i32_e32 v112, 31, v101
	v_add_co_ci_u32_e64 v100, null, v3, v54, vcc_lo
	v_add_co_u32 v6, vcc_lo, v6, -4
	v_and_b32_e32 v2, 31, v31
	v_add_co_ci_u32_e64 v7, null, -1, v7, vcc_lo
	v_add_co_u32 v113, vcc_lo, v12, v101
	s_ashr_i32 s8, s5, 3
	v_add_co_ci_u32_e64 v114, null, v13, v112, vcc_lo
	v_add_co_u32 v115, vcc_lo, v10, v101
	v_mov_b32_e32 v55, 0
	s_and_b32 s15, s8, -16
	v_cmp_eq_u32_e64 s8, 0, v2
	v_add_co_ci_u32_e64 v116, null, v11, v112, vcc_lo
	v_add_co_u32 v2, vcc_lo, v26, v12
	v_lshlrev_b64 v[18:19], 4, v[4:5]
	v_add_co_ci_u32_e64 v3, null, v27, v13, vcc_lo
	v_add_co_u32 v10, vcc_lo, v2, v101
	v_mov_b32_e32 v2, v55
	v_add_co_ci_u32_e64 v11, null, v3, v112, vcc_lo
	s_waitcnt vmcnt(1) lgkmcnt(1)
	v_add_co_u32 v117, vcc_lo, v38, v18
	s_ashr_i32 s18, s5, 7
	v_mov_b32_e32 v68, 0
	v_cmp_ne_u64_e64 s5, 0, v[52:53]
	s_waitcnt vmcnt(0) lgkmcnt(0)
	v_cmp_ne_u64_e64 s6, 0, v[14:15]
	v_cmp_ne_u64_e64 s9, 0, v[50:51]
	v_lshlrev_b64 v[70:71], 4, v[1:2]
	v_mov_b32_e32 v2, 0
	v_and_b32_e32 v66, 0x1fffff0, v21
	v_mov_b32_e32 v67, v55
	v_mov_b32_e32 v69, 0
	v_cmp_ne_u32_e64 s7, 32, v1
	v_cmp_ne_u32_sdwa s19, v1, v0 src0_sel:DWORD src1_sel:WORD_0
	v_lshrrev_b32_e32 v102, 5, v1
	v_lshlrev_b32_e32 v103, 3, v1
	v_lshlrev_b32_e32 v5, 6, v1
	v_add_co_ci_u32_e64 v118, null, v39, v19, vcc_lo
	v_mov_b32_e32 v119, 1
	v_mov_b32_e32 v40, 0x7f
	;; [unrolled: 1-line block ×8, first 2 shown]
	s_cmp_gt_i32 s14, 2
	s_mov_b32 s13, 0
	s_cselect_b32 s21, -1, 0
	s_mov_b32 s20, 0
	s_branch .LBB0_36
.LBB0_35:                               ;   in Loop: Header=BB0_36 Depth=1
	s_or_b32 exec_lo, exec_lo, s10
	v_add_co_u32 v68, vcc_lo, v68, v66
	v_add_co_ci_u32_e64 v69, null, 0, v69, vcc_lo
	v_add_co_u32 v36, vcc_lo, v36, 1
	v_add_co_ci_u32_e64 v37, null, 0, v37, vcc_lo
	v_cmp_ge_u64_e32 vcc_lo, v[68:69], v[8:9]
	v_add_co_u32 v10, s10, v10, v66
	v_add_co_ci_u32_e64 v11, null, 0, v11, s10
	s_or_b32 s20, vcc_lo, s20
	s_andn2_b32 exec_lo, exec_lo, s20
	s_cbranch_execz .LBB0_607
.LBB0_36:                               ; =>This Loop Header: Depth=1
                                        ;     Child Loop BB0_41 Depth 2
                                        ;     Child Loop BB0_60 Depth 2
	;; [unrolled: 1-line block ×5, first 2 shown]
                                        ;       Child Loop BB0_90 Depth 3
                                        ;       Child Loop BB0_109 Depth 3
	;; [unrolled: 1-line block ×3, first 2 shown]
                                        ;         Child Loop BB0_139 Depth 4
                                        ;       Child Loop BB0_345 Depth 3
                                        ;       Child Loop BB0_126 Depth 3
                                        ;     Child Loop BB0_361 Depth 2
                                        ;       Child Loop BB0_369 Depth 3
                                        ;     Child Loop BB0_595 Depth 2
	s_waitcnt vmcnt(0) lgkmcnt(0)
	flat_load_dword v20, v[6:7]
	v_sub_co_u32 v18, vcc_lo, v8, v68
	v_sub_co_ci_u32_e64 v19, null, v9, v69, vcc_lo
	v_cmp_lt_u64_e32 vcc_lo, v[66:67], v[18:19]
	v_cndmask_b32_e32 v21, v18, v66, vcc_lo
	v_lshl_add_u32 v18, v21, 1, 14
	v_and_b32_e32 v47, 0x7fffff0, v18
	s_and_saveexec_b32 s11, s5
	s_cbranch_execz .LBB0_52
; %bb.37:                               ;   in Loop: Header=BB0_36 Depth=1
	v_add_co_u32 v18, vcc_lo, v16, 1
	v_add_co_ci_u32_e64 v19, null, 0, v17, vcc_lo
	v_add_co_u32 v80, vcc_lo, v64, 8
	v_add_co_ci_u32_e64 v81, null, 0, v65, vcc_lo
	s_mov_b32 s12, exec_lo
	v_cmpx_lt_u64_e64 v[80:81], v[18:19]
	s_cbranch_execz .LBB0_49
; %bb.38:                               ;   in Loop: Header=BB0_36 Depth=1
	s_mov_b32 s22, 0
	s_mov_b32 s26, 0
	v_cmp_eq_u32_e32 vcc_lo, 0, v45
                                        ; implicit-def: $sgpr23
                                        ; implicit-def: $sgpr24
                                        ; implicit-def: $sgpr25
	s_branch .LBB0_41
.LBB0_39:                               ;   in Loop: Header=BB0_41 Depth=2
	s_or_b32 exec_lo, exec_lo, s41
	v_mov_b32_e32 v54, 0
	s_andn2_b32 s10, s25, exec_lo
	s_and_b32 s25, s29, exec_lo
	s_andn2_b32 s24, s24, exec_lo
	s_and_b32 s28, s28, exec_lo
	s_or_b32 s25, s10, s25
	s_or_b32 s24, s24, s28
.LBB0_40:                               ;   in Loop: Header=BB0_41 Depth=2
	s_or_b32 exec_lo, exec_lo, s27
	s_and_b32 s10, exec_lo, s24
	s_or_b32 s22, s10, s22
	s_andn2_b32 s10, s23, exec_lo
	s_and_b32 s23, s25, exec_lo
	s_or_b32 s23, s10, s23
	s_andn2_b32 exec_lo, exec_lo, s22
	s_cbranch_execz .LBB0_46
.LBB0_41:                               ;   Parent Loop BB0_36 Depth=1
                                        ; =>  This Inner Loop Header: Depth=2
	s_sleep 1
	s_waitcnt vmcnt(0) lgkmcnt(0)
	flat_load_dwordx2 v[64:65], v[52:53] glc dlc
	v_mov_b32_e32 v54, v45
	s_or_b32 s25, s25, exec_lo
	s_or_b32 s24, s24, exec_lo
                                        ; implicit-def: $vgpr17
	s_and_saveexec_b32 s27, vcc_lo
	s_cbranch_execz .LBB0_40
; %bb.42:                               ;   in Loop: Header=BB0_41 Depth=2
	s_add_i32 s26, s26, 1
	s_mov_b32 s28, -1
	s_cmpk_lg_i32 s26, 0x2710
	s_mov_b32 s29, -1
	s_cselect_b32 s40, -1, 0
	s_cmpk_eq_i32 s26, 0x2710
                                        ; implicit-def: $vgpr17
	s_cbranch_scc1 .LBB0_44
; %bb.43:                               ;   in Loop: Header=BB0_41 Depth=2
	s_and_saveexec_b32 s41, s40
	s_cbranch_execz .LBB0_39
	s_branch .LBB0_45
.LBB0_44:                               ;   in Loop: Header=BB0_41 Depth=2
	s_trap 2
	ds_read_b64 v[80:81], v0
	s_andn2_b32 s26, s40, exec_lo
	s_mov_b32 s29, 0
	s_waitcnt vmcnt(0) lgkmcnt(0)
	s_waitcnt_vscnt null, 0x0
	flat_load_dword v17, v[80:81] glc dlc
	s_waitcnt vmcnt(0) lgkmcnt(0)
	buffer_gl1_inv
	buffer_gl0_inv
	v_cmp_eq_u32_e64 s10, 0, v17
	s_and_b32 s10, s10, exec_lo
	s_or_b32 s40, s26, s10
	s_mov_b32 s26, 0
	s_and_saveexec_b32 s41, s40
	s_cbranch_execz .LBB0_39
.LBB0_45:                               ;   in Loop: Header=BB0_41 Depth=2
	s_waitcnt vmcnt(0) lgkmcnt(0)
	v_add_co_u32 v80, s10, v64, 8
	v_add_co_ci_u32_e64 v81, null, 0, v65, s10
	s_or_b32 s29, s29, exec_lo
	v_cmp_ge_u64_e64 s10, v[80:81], v[18:19]
	s_orn2_b32 s28, s10, exec_lo
	s_branch .LBB0_39
.LBB0_46:                               ;   in Loop: Header=BB0_36 Depth=1
	s_or_b32 exec_lo, exec_lo, s22
	s_xor_b32 s10, s23, -1
	s_and_saveexec_b32 s22, s10
	s_xor_b32 s10, exec_lo, s22
	s_cbranch_execz .LBB0_48
; %bb.47:                               ;   in Loop: Header=BB0_36 Depth=1
	v_mov_b32_e32 v54, 1
	s_waitcnt vmcnt(0) lgkmcnt(0)
	s_waitcnt_vscnt null, 0x0
	ds_write_b32 v0, v17
	s_trap 2
.LBB0_48:                               ;   in Loop: Header=BB0_36 Depth=1
	s_or_b32 exec_lo, exec_lo, s10
	v_mov_b32_e32 v45, v54
.LBB0_49:                               ;   in Loop: Header=BB0_36 Depth=1
	s_or_b32 exec_lo, exec_lo, s12
	s_and_saveexec_b32 s10, s6
	s_cbranch_execz .LBB0_51
; %bb.50:                               ;   in Loop: Header=BB0_36 Depth=1
	v_and_b32_e32 v54, 0x7ffffff8, v16
	v_and_b32_e32 v17, 7, v16
	v_cmp_eq_u64_e32 vcc_lo, 0x7ffffff8, v[54:55]
	v_mad_u64_u32 v[80:81], null, v17, 24, v[14:15]
	v_cndmask_b32_e64 v16, v47, s15, vcc_lo
	v_ashrrev_i32_e32 v17, 31, v16
	flat_store_dwordx2 v[80:81], v[16:17] offset:8
	s_waitcnt_vscnt null, 0x0
.LBB0_51:                               ;   in Loop: Header=BB0_36 Depth=1
	s_or_b32 exec_lo, exec_lo, s10
	v_mov_b32_e32 v16, v18
	v_mov_b32_e32 v17, v19
.LBB0_52:                               ;   in Loop: Header=BB0_36 Depth=1
	s_or_b32 exec_lo, exec_lo, s11
	s_and_saveexec_b32 s10, s7
	s_cbranch_execz .LBB0_71
; %bb.53:                               ;   in Loop: Header=BB0_36 Depth=1
	s_and_saveexec_b32 s11, s19
	s_xor_b32 s11, exec_lo, s11
	s_cbranch_execz .LBB0_68
; %bb.54:                               ;   in Loop: Header=BB0_36 Depth=1
	s_and_saveexec_b32 s12, s8
	s_cbranch_execz .LBB0_67
; %bb.55:                               ;   in Loop: Header=BB0_36 Depth=1
	s_mov_b32 s23, exec_lo
	s_mov_b32 s22, exec_lo
	v_mbcnt_lo_u32_b32 v18, s23, 0
	s_waitcnt vmcnt(0) lgkmcnt(0)
	s_waitcnt_vscnt null, 0x0
	buffer_gl1_inv
	buffer_gl0_inv
	v_cmpx_eq_u32_e32 0, v18
	s_cbranch_execz .LBB0_57
; %bb.56:                               ;   in Loop: Header=BB0_36 Depth=1
	s_bcnt1_i32_b32 s23, s23
	v_mov_b32_e32 v54, s23
	ds_add_u64 v0, v[54:55]
	s_trap 2
.LBB0_57:                               ;   in Loop: Header=BB0_36 Depth=1
	s_or_b32 exec_lo, exec_lo, s22
	s_trap 2
	ds_read_b64 v[18:19], v0
	s_waitcnt lgkmcnt(0)
	buffer_gl0_inv
	v_add_co_u32 v2, vcc_lo, v2, v102
	v_add_co_ci_u32_e64 v3, null, 0, v3, vcc_lo
	s_mov_b32 s22, exec_lo
	v_cmpx_lt_u64_e64 v[18:19], v[2:3]
	s_cbranch_execz .LBB0_66
; %bb.58:                               ;   in Loop: Header=BB0_36 Depth=1
	s_mov_b32 s23, 0
	s_mov_b32 s26, 0
                                        ; implicit-def: $sgpr24
                                        ; implicit-def: $sgpr25
	s_inst_prefetch 0x1
	s_branch .LBB0_60
	.p2align	6
.LBB0_59:                               ;   in Loop: Header=BB0_60 Depth=2
	s_or_b32 exec_lo, exec_lo, s28
	s_and_b32 s27, exec_lo, s29
	s_or_b32 s23, s27, s23
	s_andn2_b32 s24, s24, exec_lo
	s_and_b32 s27, s25, exec_lo
	s_or_b32 s24, s24, s27
	s_andn2_b32 exec_lo, exec_lo, s23
	s_cbranch_execz .LBB0_64
.LBB0_60:                               ;   Parent Loop BB0_36 Depth=1
                                        ; =>  This Inner Loop Header: Depth=2
	s_add_i32 s26, s26, 1
	s_cmpk_lg_i32 s26, 0x2710
	s_cselect_b32 s27, -1, 0
	s_and_b32 vcc_lo, exec_lo, s27
	s_cbranch_vccz .LBB0_62
; %bb.61:                               ;   in Loop: Header=BB0_60 Depth=2
	s_mov_b32 s29, -1
	s_or_b32 s25, s25, exec_lo
	s_and_saveexec_b32 s28, s27
	s_cbranch_execz .LBB0_59
	s_branch .LBB0_63
	.p2align	6
.LBB0_62:                               ;   in Loop: Header=BB0_60 Depth=2
	s_trap 2
	ds_read_b64 v[18:19], v0
	s_andn2_b32 s27, s27, exec_lo
	s_mov_b32 s26, 0
	s_waitcnt lgkmcnt(0)
	flat_load_dword v18, v[18:19] glc dlc
	s_waitcnt vmcnt(0) lgkmcnt(0)
	buffer_gl1_inv
	buffer_gl0_inv
	v_cmp_eq_u32_e32 vcc_lo, 0, v18
	s_and_b32 s28, vcc_lo, exec_lo
	s_or_b32 s27, s27, s28
	s_mov_b32 s29, -1
	s_or_b32 s25, s25, exec_lo
	s_and_saveexec_b32 s28, s27
	s_cbranch_execz .LBB0_59
.LBB0_63:                               ;   in Loop: Header=BB0_60 Depth=2
	s_sleep 1
	s_trap 2
	ds_read_b64 v[18:19], v0
	s_waitcnt lgkmcnt(0)
	buffer_gl0_inv
	s_andn2_b32 s25, s25, exec_lo
	v_cmp_ge_u64_e32 vcc_lo, v[18:19], v[2:3]
	s_orn2_b32 s29, vcc_lo, exec_lo
	s_branch .LBB0_59
.LBB0_64:                               ;   in Loop: Header=BB0_36 Depth=1
	s_inst_prefetch 0x2
	s_or_b32 exec_lo, exec_lo, s23
	s_and_saveexec_b32 s23, s24
	s_xor_b32 s23, exec_lo, s23
	s_cbranch_execz .LBB0_66
; %bb.65:                               ;   in Loop: Header=BB0_36 Depth=1
	ds_write_b32 v0, v119
	s_trap 2
.LBB0_66:                               ;   in Loop: Header=BB0_36 Depth=1
	s_or_b32 exec_lo, exec_lo, s22
	;;#ASMSTART
	s_wakeup
	;;#ASMEND
.LBB0_67:                               ;   in Loop: Header=BB0_36 Depth=1
	s_or_b32 exec_lo, exec_lo, s12
.LBB0_68:                               ;   in Loop: Header=BB0_36 Depth=1
	s_andn2_saveexec_b32 s11, s11
	s_cbranch_execz .LBB0_70
; %bb.69:                               ;   in Loop: Header=BB0_36 Depth=1
	s_waitcnt vmcnt(0) lgkmcnt(0)
	s_waitcnt_vscnt null, 0x0
	buffer_gl1_inv
	buffer_gl0_inv
	s_barrier
.LBB0_70:                               ;   in Loop: Header=BB0_36 Depth=1
	s_or_b32 exec_lo, exec_lo, s11
.LBB0_71:                               ;   in Loop: Header=BB0_36 Depth=1
	s_or_b32 exec_lo, exec_lo, s10
	v_sub_nc_u32_e32 v46, v21, v101
	v_and_b32_e32 v85, 7, v22
	v_add_nc_u32_e32 v19, 1, v22
	v_mov_b32_e32 v80, v4
	v_cmp_lt_i32_e64 s10, 0, v46
	s_and_saveexec_b32 s12, s10
	s_cbranch_execz .LBB0_79
; %bb.72:                               ;   in Loop: Header=BB0_36 Depth=1
	v_mul_lo_u32 v83, v85, s18
	s_waitcnt vmcnt(0) lgkmcnt(0)
	v_ashrrev_i32_e32 v18, 31, v20
	v_mad_u64_u32 v[81:82], null, v30, v20, v[10:11]
	v_mul_lo_u32 v54, v100, v20
	v_mul_lo_u32 v80, v30, v20
	;; [unrolled: 1-line block ×3, first 2 shown]
	v_mov_b32_e32 v86, v46
	v_ashrrev_i32_e32 v84, 31, v83
	s_mov_b32 s22, 0
	v_add_lshl_u32 v87, v10, v80, 3
	v_lshlrev_b64 v[20:21], 4, v[83:84]
	v_add3_u32 v82, v54, v82, v18
	v_mov_b32_e32 v80, v4
	v_add_co_u32 v83, vcc_lo, v117, v20
	v_add_co_ci_u32_e64 v84, null, v118, v21, vcc_lo
	s_inst_prefetch 0x1
	s_branch .LBB0_74
	.p2align	6
.LBB0_73:                               ;   in Loop: Header=BB0_74 Depth=2
	s_or_b32 exec_lo, exec_lo, s11
	s_waitcnt vmcnt(0)
	v_alignbit_b32 v18, v97, v18, v87
	v_alignbit_b32 v20, v96, v97, v87
	v_mov_b32_e32 v21, v19
	v_sub_nc_u32_e32 v86, v86, v103
	v_add_co_u32 v81, vcc_lo, v81, v103
	v_add_co_ci_u32_e64 v82, null, 0, v82, vcc_lo
	global_store_dwordx4 v[83:84], v[18:21], off
	v_cmp_gt_i32_e32 vcc_lo, 1, v86
	v_add_co_u32 v83, s11, v83, v70
	v_add_nc_u32_e32 v80, v80, v1
	v_add_nc_u32_e32 v87, v87, v5
	v_add_co_ci_u32_e64 v84, null, v84, v71, s11
	s_or_b32 s22, vcc_lo, s22
	s_andn2_b32 exec_lo, exec_lo, s22
	s_cbranch_execz .LBB0_78
.LBB0_74:                               ;   Parent Loop BB0_36 Depth=1
                                        ; =>  This Inner Loop Header: Depth=2
	v_and_b32_e32 v20, -4, v81
	v_mov_b32_e32 v21, v82
	v_min_u32_e32 v54, 8, v86
	v_and_b32_e32 v96, 3, v81
	v_mov_b32_e32 v97, 0
	s_mov_b32 s11, exec_lo
	global_load_dword v18, v[20:21], off slc
	v_add_nc_u32_e32 v54, v96, v54
	v_mov_b32_e32 v96, 0
	v_cmpx_lt_u32_e32 4, v54
	s_cbranch_execz .LBB0_76
; %bb.75:                               ;   in Loop: Header=BB0_74 Depth=2
	global_load_dword v97, v[20:21], off offset:4 slc
.LBB0_76:                               ;   in Loop: Header=BB0_74 Depth=2
	s_or_b32 exec_lo, exec_lo, s11
	s_mov_b32 s11, exec_lo
	v_cmpx_lt_u64_e32 8, v[54:55]
	s_cbranch_execz .LBB0_73
; %bb.77:                               ;   in Loop: Header=BB0_74 Depth=2
	global_load_dword v96, v[20:21], off offset:8 slc
	s_branch .LBB0_73
.LBB0_78:                               ;   in Loop: Header=BB0_36 Depth=1
	s_inst_prefetch 0x2
	s_or_b32 exec_lo, exec_lo, s22
.LBB0_79:                               ;   in Loop: Header=BB0_36 Depth=1
	s_or_b32 exec_lo, exec_lo, s12
	v_and_b32_e32 v54, 0x7ffffff8, v22
	v_cmp_gt_i32_e64 s11, s18, v80
	v_cmp_eq_u64_e32 vcc_lo, 0x7ffffff8, v[54:55]
	s_and_b32 s11, vcc_lo, s11
	s_and_saveexec_b32 s12, s11
	s_cbranch_execz .LBB0_82
; %bb.80:                               ;   in Loop: Header=BB0_36 Depth=1
	s_waitcnt vmcnt(0) lgkmcnt(0)
	v_mul_lo_u32 v20, v85, s18
	v_ashrrev_i32_e32 v81, 31, v80
	v_mov_b32_e32 v18, v55
	s_mov_b32 s22, 0
	v_lshlrev_b64 v[81:82], 4, v[80:81]
	v_ashrrev_i32_e32 v21, 31, v20
	v_lshlrev_b64 v[20:21], 4, v[20:21]
	v_add_co_u32 v20, vcc_lo, v81, v20
	v_add_co_ci_u32_e64 v21, null, v82, v21, vcc_lo
	v_add_co_u32 v81, vcc_lo, v38, v20
	v_add_co_ci_u32_e64 v82, null, v39, v21, vcc_lo
.LBB0_81:                               ;   Parent Loop BB0_36 Depth=1
                                        ; =>  This Inner Loop Header: Depth=2
	v_mov_b32_e32 v20, v18
	v_add_nc_u32_e32 v80, v80, v1
	v_mov_b32_e32 v21, v19
	v_cmp_le_i32_e32 vcc_lo, s18, v80
	global_store_dwordx4 v[81:82], v[18:21], off
	v_add_co_u32 v81, s11, v81, v70
	v_add_co_ci_u32_e64 v82, null, v82, v71, s11
	s_or_b32 s22, vcc_lo, s22
	s_andn2_b32 exec_lo, exec_lo, s22
	s_cbranch_execnz .LBB0_81
.LBB0_82:                               ;   in Loop: Header=BB0_36 Depth=1
	s_or_b32 exec_lo, exec_lo, s12
	v_add_co_u32 v56, vcc_lo, v68, v26
	v_add_co_ci_u32_e64 v57, null, v69, v27, vcc_lo
	v_add_co_u32 v80, vcc_lo, v22, 1
	v_add_co_ci_u32_e64 v81, null, 0, v23, vcc_lo
	s_andn2_b32 vcc_lo, exec_lo, s21
	s_cbranch_vccnz .LBB0_356
; %bb.83:                               ;   in Loop: Header=BB0_36 Depth=1
	v_add_co_u32 v82, vcc_lo, v113, v56
	v_add_co_ci_u32_e64 v83, null, v114, v57, vcc_lo
	v_add_nc_u16 v58, v22, 1
	s_mov_b32 s22, 2
	s_branch .LBB0_85
.LBB0_84:                               ;   in Loop: Header=BB0_85 Depth=2
	s_or_b32 exec_lo, exec_lo, s12
	v_add_co_u32 v36, vcc_lo, v36, 1
	v_add_co_ci_u32_e64 v37, null, 0, v37, vcc_lo
	v_add_co_u32 v80, vcc_lo, v80, 1
	v_add_co_ci_u32_e64 v81, null, 0, v81, vcc_lo
	v_add_nc_u16 v58, v58, 1
	s_add_i32 s22, s22, 1
	s_cmp_eq_u32 s22, s14
	s_cbranch_scc1 .LBB0_356
.LBB0_85:                               ;   Parent Loop BB0_36 Depth=1
                                        ; =>  This Loop Header: Depth=2
                                        ;       Child Loop BB0_90 Depth 3
                                        ;       Child Loop BB0_109 Depth 3
	;; [unrolled: 1-line block ×3, first 2 shown]
                                        ;         Child Loop BB0_139 Depth 4
                                        ;       Child Loop BB0_345 Depth 3
                                        ;       Child Loop BB0_126 Depth 3
	s_sub_i32 s12, s14, s22
	s_lshl_b64 s[24:25], s[12:13], 2
	v_add_co_u32 v18, vcc_lo, v24, s24
	v_add_co_ci_u32_e64 v19, null, s25, v25, vcc_lo
	s_waitcnt vmcnt(0) lgkmcnt(0)
	flat_load_dword v20, v[18:19]
	s_and_saveexec_b32 s12, s5
	s_cbranch_execz .LBB0_101
; %bb.86:                               ;   in Loop: Header=BB0_85 Depth=2
	v_add_co_u32 v18, vcc_lo, v16, 1
	v_add_co_ci_u32_e64 v19, null, 0, v17, vcc_lo
	v_add_co_u32 v21, vcc_lo, v64, 8
	v_add_co_ci_u32_e64 v22, null, 0, v65, vcc_lo
	s_mov_b32 s23, exec_lo
	v_cmpx_lt_u64_e64 v[21:22], v[18:19]
	s_cbranch_execz .LBB0_98
; %bb.87:                               ;   in Loop: Header=BB0_85 Depth=2
	s_mov_b32 s24, 0
	s_mov_b32 s28, 0
	v_cmp_eq_u32_e32 vcc_lo, 0, v45
                                        ; implicit-def: $sgpr25
                                        ; implicit-def: $sgpr26
                                        ; implicit-def: $sgpr27
	s_branch .LBB0_90
.LBB0_88:                               ;   in Loop: Header=BB0_90 Depth=3
	s_or_b32 exec_lo, exec_lo, s43
	v_mov_b32_e32 v21, 0
	s_andn2_b32 s11, s27, exec_lo
	s_and_b32 s27, s41, exec_lo
	s_andn2_b32 s26, s26, exec_lo
	s_and_b32 s40, s40, exec_lo
	s_or_b32 s27, s11, s27
	s_or_b32 s26, s26, s40
.LBB0_89:                               ;   in Loop: Header=BB0_90 Depth=3
	s_or_b32 exec_lo, exec_lo, s29
	s_and_b32 s11, exec_lo, s26
	s_or_b32 s24, s11, s24
	s_andn2_b32 s11, s25, exec_lo
	s_and_b32 s25, s27, exec_lo
	s_or_b32 s25, s11, s25
	s_andn2_b32 exec_lo, exec_lo, s24
	s_cbranch_execz .LBB0_95
.LBB0_90:                               ;   Parent Loop BB0_36 Depth=1
                                        ;     Parent Loop BB0_85 Depth=2
                                        ; =>    This Inner Loop Header: Depth=3
	s_sleep 1
	s_waitcnt vmcnt(0) lgkmcnt(0)
	flat_load_dwordx2 v[64:65], v[52:53] glc dlc
	v_mov_b32_e32 v21, v45
	s_or_b32 s27, s27, exec_lo
	s_or_b32 s26, s26, exec_lo
                                        ; implicit-def: $vgpr17
	s_and_saveexec_b32 s29, vcc_lo
	s_cbranch_execz .LBB0_89
; %bb.91:                               ;   in Loop: Header=BB0_90 Depth=3
	s_add_i32 s28, s28, 1
	s_mov_b32 s40, -1
	s_cmpk_lg_i32 s28, 0x2710
	s_mov_b32 s41, -1
	s_cselect_b32 s42, -1, 0
	s_cmpk_eq_i32 s28, 0x2710
                                        ; implicit-def: $vgpr17
	s_cbranch_scc1 .LBB0_93
; %bb.92:                               ;   in Loop: Header=BB0_90 Depth=3
	s_and_saveexec_b32 s43, s42
	s_cbranch_execz .LBB0_88
	s_branch .LBB0_94
.LBB0_93:                               ;   in Loop: Header=BB0_90 Depth=3
	s_trap 2
	ds_read_b64 v[21:22], v0
	s_andn2_b32 s28, s42, exec_lo
	s_mov_b32 s41, 0
	s_waitcnt vmcnt(0) lgkmcnt(0)
	s_waitcnt_vscnt null, 0x0
	flat_load_dword v17, v[21:22] glc dlc
	s_waitcnt vmcnt(0) lgkmcnt(0)
	buffer_gl1_inv
	buffer_gl0_inv
	v_cmp_eq_u32_e64 s11, 0, v17
	s_and_b32 s11, s11, exec_lo
	s_or_b32 s42, s28, s11
	s_mov_b32 s28, 0
	s_and_saveexec_b32 s43, s42
	s_cbranch_execz .LBB0_88
.LBB0_94:                               ;   in Loop: Header=BB0_90 Depth=3
	s_waitcnt vmcnt(0) lgkmcnt(0)
	v_add_co_u32 v21, s11, v64, 8
	v_add_co_ci_u32_e64 v22, null, 0, v65, s11
	s_or_b32 s41, s41, exec_lo
	v_cmp_ge_u64_e64 s11, v[21:22], v[18:19]
	s_orn2_b32 s40, s11, exec_lo
	s_branch .LBB0_88
.LBB0_95:                               ;   in Loop: Header=BB0_85 Depth=2
	s_or_b32 exec_lo, exec_lo, s24
	s_xor_b32 s11, s25, -1
	s_and_saveexec_b32 s24, s11
	s_xor_b32 s11, exec_lo, s24
	s_cbranch_execz .LBB0_97
; %bb.96:                               ;   in Loop: Header=BB0_85 Depth=2
	v_mov_b32_e32 v21, 1
	s_waitcnt vmcnt(0) lgkmcnt(0)
	s_waitcnt_vscnt null, 0x0
	ds_write_b32 v0, v17
	s_trap 2
.LBB0_97:                               ;   in Loop: Header=BB0_85 Depth=2
	s_or_b32 exec_lo, exec_lo, s11
	v_mov_b32_e32 v45, v21
.LBB0_98:                               ;   in Loop: Header=BB0_85 Depth=2
	s_or_b32 exec_lo, exec_lo, s23
	s_and_saveexec_b32 s11, s6
	s_cbranch_execz .LBB0_100
; %bb.99:                               ;   in Loop: Header=BB0_85 Depth=2
	v_and_b32_e32 v54, 0x7ffffff8, v16
	v_and_b32_e32 v17, 7, v16
	v_cmp_eq_u64_e32 vcc_lo, 0x7ffffff8, v[54:55]
	v_mad_u64_u32 v[21:22], null, v17, 24, v[14:15]
	v_cndmask_b32_e64 v16, v47, s15, vcc_lo
	v_ashrrev_i32_e32 v17, 31, v16
	flat_store_dwordx2 v[21:22], v[16:17] offset:8
	s_waitcnt_vscnt null, 0x0
.LBB0_100:                              ;   in Loop: Header=BB0_85 Depth=2
	s_or_b32 exec_lo, exec_lo, s11
	v_mov_b32_e32 v16, v18
	v_mov_b32_e32 v17, v19
.LBB0_101:                              ;   in Loop: Header=BB0_85 Depth=2
	s_or_b32 exec_lo, exec_lo, s12
	s_and_saveexec_b32 s11, s7
	s_cbranch_execz .LBB0_120
; %bb.102:                              ;   in Loop: Header=BB0_85 Depth=2
	s_and_saveexec_b32 s12, s19
	s_xor_b32 s12, exec_lo, s12
	s_cbranch_execz .LBB0_117
; %bb.103:                              ;   in Loop: Header=BB0_85 Depth=2
	s_and_saveexec_b32 s23, s8
	s_cbranch_execz .LBB0_116
; %bb.104:                              ;   in Loop: Header=BB0_85 Depth=2
	s_mov_b32 s25, exec_lo
	s_mov_b32 s24, exec_lo
	v_mbcnt_lo_u32_b32 v18, s25, 0
	s_waitcnt vmcnt(0) lgkmcnt(0)
	s_waitcnt_vscnt null, 0x0
	buffer_gl1_inv
	buffer_gl0_inv
	v_cmpx_eq_u32_e32 0, v18
	s_cbranch_execz .LBB0_106
; %bb.105:                              ;   in Loop: Header=BB0_85 Depth=2
	s_bcnt1_i32_b32 s25, s25
	v_mov_b32_e32 v54, s25
	ds_add_u64 v0, v[54:55]
	s_trap 2
.LBB0_106:                              ;   in Loop: Header=BB0_85 Depth=2
	s_or_b32 exec_lo, exec_lo, s24
	s_trap 2
	ds_read_b64 v[18:19], v0
	s_waitcnt lgkmcnt(0)
	buffer_gl0_inv
	v_add_co_u32 v2, vcc_lo, v2, v102
	v_add_co_ci_u32_e64 v3, null, 0, v3, vcc_lo
	s_mov_b32 s24, exec_lo
	v_cmpx_lt_u64_e64 v[18:19], v[2:3]
	s_cbranch_execz .LBB0_115
; %bb.107:                              ;   in Loop: Header=BB0_85 Depth=2
	s_mov_b32 s25, 0
	s_mov_b32 s28, 0
                                        ; implicit-def: $sgpr26
                                        ; implicit-def: $sgpr27
	s_inst_prefetch 0x1
	s_branch .LBB0_109
	.p2align	6
.LBB0_108:                              ;   in Loop: Header=BB0_109 Depth=3
	s_or_b32 exec_lo, exec_lo, s40
	s_and_b32 s29, exec_lo, s41
	s_or_b32 s25, s29, s25
	s_andn2_b32 s26, s26, exec_lo
	s_and_b32 s29, s27, exec_lo
	s_or_b32 s26, s26, s29
	s_andn2_b32 exec_lo, exec_lo, s25
	s_cbranch_execz .LBB0_113
.LBB0_109:                              ;   Parent Loop BB0_36 Depth=1
                                        ;     Parent Loop BB0_85 Depth=2
                                        ; =>    This Inner Loop Header: Depth=3
	s_add_i32 s28, s28, 1
	s_cmpk_lg_i32 s28, 0x2710
	s_cselect_b32 s29, -1, 0
	s_and_b32 vcc_lo, exec_lo, s29
	s_cbranch_vccz .LBB0_111
; %bb.110:                              ;   in Loop: Header=BB0_109 Depth=3
	s_mov_b32 s41, -1
	s_or_b32 s27, s27, exec_lo
	s_and_saveexec_b32 s40, s29
	s_cbranch_execz .LBB0_108
	s_branch .LBB0_112
	.p2align	6
.LBB0_111:                              ;   in Loop: Header=BB0_109 Depth=3
	s_trap 2
	ds_read_b64 v[18:19], v0
	s_andn2_b32 s29, s29, exec_lo
	s_mov_b32 s28, 0
	s_waitcnt lgkmcnt(0)
	flat_load_dword v18, v[18:19] glc dlc
	s_waitcnt vmcnt(0) lgkmcnt(0)
	buffer_gl1_inv
	buffer_gl0_inv
	v_cmp_eq_u32_e32 vcc_lo, 0, v18
	s_and_b32 s40, vcc_lo, exec_lo
	s_or_b32 s29, s29, s40
	s_mov_b32 s41, -1
	s_or_b32 s27, s27, exec_lo
	s_and_saveexec_b32 s40, s29
	s_cbranch_execz .LBB0_108
.LBB0_112:                              ;   in Loop: Header=BB0_109 Depth=3
	s_sleep 1
	s_trap 2
	ds_read_b64 v[18:19], v0
	s_waitcnt lgkmcnt(0)
	buffer_gl0_inv
	s_andn2_b32 s27, s27, exec_lo
	v_cmp_ge_u64_e32 vcc_lo, v[18:19], v[2:3]
	s_orn2_b32 s41, vcc_lo, exec_lo
	s_branch .LBB0_108
.LBB0_113:                              ;   in Loop: Header=BB0_85 Depth=2
	s_inst_prefetch 0x2
	s_or_b32 exec_lo, exec_lo, s25
	s_and_saveexec_b32 s25, s26
	s_xor_b32 s25, exec_lo, s25
	s_cbranch_execz .LBB0_115
; %bb.114:                              ;   in Loop: Header=BB0_85 Depth=2
	ds_write_b32 v0, v119
	s_trap 2
.LBB0_115:                              ;   in Loop: Header=BB0_85 Depth=2
	s_or_b32 exec_lo, exec_lo, s24
	;;#ASMSTART
	s_wakeup
	;;#ASMEND
.LBB0_116:                              ;   in Loop: Header=BB0_85 Depth=2
	s_or_b32 exec_lo, exec_lo, s23
.LBB0_117:                              ;   in Loop: Header=BB0_85 Depth=2
	s_andn2_saveexec_b32 s12, s12
	s_cbranch_execz .LBB0_119
; %bb.118:                              ;   in Loop: Header=BB0_85 Depth=2
	s_waitcnt vmcnt(0) lgkmcnt(0)
	s_waitcnt_vscnt null, 0x0
	buffer_gl1_inv
	buffer_gl0_inv
	s_barrier
.LBB0_119:                              ;   in Loop: Header=BB0_85 Depth=2
	s_or_b32 exec_lo, exec_lo, s12
.LBB0_120:                              ;   in Loop: Header=BB0_85 Depth=2
	s_or_b32 exec_lo, exec_lo, s11
	v_add_nc_u32_e32 v19, 1, v80
	v_mov_b32_e32 v84, v4
	s_and_saveexec_b32 s12, s10
	s_cbranch_execnz .LBB0_127
; %bb.121:                              ;   in Loop: Header=BB0_85 Depth=2
	s_or_b32 exec_lo, exec_lo, s12
	s_and_saveexec_b32 s11, s7
	s_cbranch_execnz .LBB0_338
.LBB0_122:                              ;   in Loop: Header=BB0_85 Depth=2
	s_or_b32 exec_lo, exec_lo, s11
	s_and_saveexec_b32 s11, s9
	s_cbranch_execz .LBB0_124
.LBB0_123:                              ;   in Loop: Header=BB0_85 Depth=2
	v_add_co_u32 v48, vcc_lo, v48, 1
	v_add_co_ci_u32_e64 v49, null, 0, v49, vcc_lo
	s_waitcnt vmcnt(0) lgkmcnt(0)
	s_waitcnt_vscnt null, 0x0
	flat_store_dwordx2 v[50:51], v[48:49]
.LBB0_124:                              ;   in Loop: Header=BB0_85 Depth=2
	s_or_b32 exec_lo, exec_lo, s11
	v_and_b32_e32 v54, 0x7ffffff8, v80
	v_cmp_gt_i32_e64 s11, s18, v84
	v_cmp_eq_u64_e32 vcc_lo, 0x7ffffff8, v[54:55]
	s_and_b32 s11, vcc_lo, s11
	s_and_saveexec_b32 s12, s11
	s_cbranch_execz .LBB0_84
; %bb.125:                              ;   in Loop: Header=BB0_85 Depth=2
	v_and_b32_e32 v18, 7, v58
	v_ashrrev_i32_e32 v85, 31, v84
	s_mov_b32 s23, 0
	s_waitcnt vmcnt(0) lgkmcnt(0)
	v_mul_lo_u32 v20, s18, v18
	v_lshlrev_b64 v[22:23], 4, v[84:85]
	v_mov_b32_e32 v18, v55
	v_ashrrev_i32_e32 v21, 31, v20
	v_lshlrev_b64 v[20:21], 4, v[20:21]
	v_add_co_u32 v20, vcc_lo, v22, v20
	v_add_co_ci_u32_e64 v21, null, v23, v21, vcc_lo
	v_add_co_u32 v22, vcc_lo, v38, v20
	v_add_co_ci_u32_e64 v23, null, v39, v21, vcc_lo
.LBB0_126:                              ;   Parent Loop BB0_36 Depth=1
                                        ;     Parent Loop BB0_85 Depth=2
                                        ; =>    This Inner Loop Header: Depth=3
	v_mov_b32_e32 v20, v18
	v_add_nc_u32_e32 v84, v84, v1
	v_mov_b32_e32 v21, v19
	v_cmp_le_i32_e32 vcc_lo, s18, v84
	global_store_dwordx4 v[22:23], v[18:21], off
	v_add_co_u32 v22, s11, v22, v70
	v_add_co_ci_u32_e64 v23, null, v23, v71, s11
	s_or_b32 s23, vcc_lo, s23
	s_andn2_b32 exec_lo, exec_lo, s23
	s_cbranch_execnz .LBB0_126
	s_branch .LBB0_84
.LBB0_127:                              ;   in Loop: Header=BB0_85 Depth=2
	v_and_b32_e32 v18, 7, v36
	v_and_b32_e32 v22, 7, v80
	s_waitcnt vmcnt(0) lgkmcnt(0)
	v_mad_u64_u32 v[86:87], null, v30, v20, v[82:83]
	v_mul_lo_u32 v23, v100, v20
	v_mul_lo_u32 v21, v18, s18
	v_ashrrev_i32_e32 v18, 31, v20
	v_mul_lo_u32 v84, v22, s18
	v_add_nc_u32_e32 v59, 1, v36
	v_mov_b32_e32 v60, v46
	s_mov_b32 s23, 0
	v_mul_lo_u32 v18, v30, v18
	v_ashrrev_i32_e32 v22, 31, v21
	v_ashrrev_i32_e32 v85, 31, v84
	v_lshlrev_b64 v[20:21], 4, v[21:22]
	v_add3_u32 v87, v23, v87, v18
	v_lshlrev_b64 v[22:23], 4, v[84:85]
	v_mov_b32_e32 v84, v4
	v_add_co_u32 v61, vcc_lo, v34, v20
	v_add_co_ci_u32_e64 v62, null, v35, v21, vcc_lo
	v_add_co_u32 v63, vcc_lo, v38, v22
	v_add_co_ci_u32_e64 v72, null, v39, v23, vcc_lo
	s_branch .LBB0_131
.LBB0_128:                              ;   in Loop: Header=BB0_131 Depth=3
	s_or_b32 exec_lo, exec_lo, s11
	v_lshrrev_b32_e32 v73, 21, v73
	v_min_i32_e32 v74, 31, v54
	v_cmp_gt_i32_e32 vcc_lo, 32, v54
	v_and_b32_sdwa v22, v22, v41 dst_sel:DWORD dst_unused:UNUSED_PAD src0_sel:BYTE_3 src1_sel:DWORD
	v_lshlrev_b32_e32 v74, 2, v74
	v_cndmask_b32_e32 v73, 3, v73, vcc_lo
	v_and_b32_e32 v74, 0xfc, v74
	v_and_b32_e32 v75, 3, v73
	v_or_b32_e32 v54, v54, v73
	v_or3_b32 v22, v22, v74, v75
	v_cmp_ne_u32_e32 vcc_lo, 0, v54
	v_lshlrev_b32_e32 v22, 8, v22
	v_cndmask_b32_e32 v54, 0, v22, vcc_lo
.LBB0_129:                              ;   in Loop: Header=BB0_131 Depth=3
	s_or_b32 exec_lo, exec_lo, s25
.LBB0_130:                              ;   in Loop: Header=BB0_131 Depth=3
	s_or_b32 exec_lo, exec_lo, s24
	v_sub_nc_u32_e32 v60, v60, v103
	v_add_co_u32 v86, vcc_lo, v86, v103
	v_or_b32_e32 v18, v21, v18
	v_or_b32_sdwa v20, v20, v23 dst_sel:WORD_1 dst_unused:UNUSED_PAD src0_sel:DWORD src1_sel:DWORD
	v_or_b32_e32 v21, v98, v85
	v_or_b32_sdwa v54, v54, v99 dst_sel:WORD_1 dst_unused:UNUSED_PAD src0_sel:DWORD src1_sel:DWORD
	v_add_co_ci_u32_e64 v87, null, 0, v87, vcc_lo
	v_add_co_u32 v22, vcc_lo, v63, v96
	v_add_co_ci_u32_e64 v23, null, v72, v97, vcc_lo
	v_cmp_gt_i32_e32 vcc_lo, 1, v60
	v_or3_b32 v18, v18, v20, 0
	v_or3_b32 v20, v21, v54, 0
	v_mov_b32_e32 v21, v19
	v_add_nc_u32_e32 v84, v84, v1
	s_or_b32 s23, vcc_lo, s23
	global_store_dwordx4 v[22:23], v[18:21], off
	s_andn2_b32 exec_lo, exec_lo, s23
	s_cbranch_execz .LBB0_337
.LBB0_131:                              ;   Parent Loop BB0_36 Depth=1
                                        ;     Parent Loop BB0_85 Depth=2
                                        ; =>    This Loop Header: Depth=3
                                        ;         Child Loop BB0_139 Depth 4
	v_and_b32_e32 v20, -4, v86
	v_mov_b32_e32 v21, v87
	v_min_u32_e32 v22, 8, v60
	v_and_b32_e32 v23, 3, v86
	v_mov_b32_e32 v73, 0
	v_mov_b32_e32 v74, 0
	global_load_dword v18, v[20:21], off slc
	s_mov_b32 s11, exec_lo
	v_add_nc_u32_e32 v54, v23, v22
	v_cmpx_lt_u32_e32 4, v54
	s_cbranch_execz .LBB0_133
; %bb.132:                              ;   in Loop: Header=BB0_131 Depth=3
	global_load_dword v74, v[20:21], off offset:4 slc
.LBB0_133:                              ;   in Loop: Header=BB0_131 Depth=3
	s_or_b32 exec_lo, exec_lo, s11
	s_mov_b32 s11, exec_lo
	v_cmpx_lt_u64_e32 8, v[54:55]
	s_cbranch_execz .LBB0_135
; %bb.134:                              ;   in Loop: Header=BB0_131 Depth=3
	global_load_dword v73, v[20:21], off offset:8 slc
.LBB0_135:                              ;   in Loop: Header=BB0_131 Depth=3
	s_or_b32 exec_lo, exec_lo, s11
	v_ashrrev_i32_e32 v85, 31, v84
	s_mov_b32 s24, exec_lo
	v_lshlrev_b64 v[96:97], 4, v[84:85]
	v_add_co_u32 v98, vcc_lo, v61, v96
	v_add_co_ci_u32_e64 v99, null, v62, v97, vcc_lo
	global_load_dwordx4 v[20:23], v[98:99], off slc
	v_cmpx_eq_u32_e32 0, v45
	s_cbranch_execz .LBB0_147
; %bb.136:                              ;   in Loop: Header=BB0_131 Depth=3
	s_waitcnt vmcnt(0)
	v_cmp_ne_u32_e32 vcc_lo, v59, v21
	v_cmp_ne_u32_e64 s11, v59, v23
	v_mov_b32_e32 v45, 0
	s_or_b32 s11, vcc_lo, s11
	s_and_saveexec_b32 s25, s11
	s_cbranch_execz .LBB0_146
; %bb.137:                              ;   in Loop: Header=BB0_131 Depth=3
	s_mov_b32 s29, 1
	s_mov_b32 s27, 0
                                        ; implicit-def: $sgpr26
                                        ; implicit-def: $sgpr28
	s_inst_prefetch 0x1
	s_branch .LBB0_139
	.p2align	6
.LBB0_138:                              ;   in Loop: Header=BB0_139 Depth=4
	s_or_b32 exec_lo, exec_lo, s41
	s_and_b32 s11, exec_lo, s11
	s_or_b32 s27, s11, s27
	s_andn2_b32 s11, s26, exec_lo
	s_and_b32 s26, s28, exec_lo
	s_or_b32 s26, s11, s26
	s_andn2_b32 exec_lo, exec_lo, s27
	s_cbranch_execz .LBB0_143
.LBB0_139:                              ;   Parent Loop BB0_36 Depth=1
                                        ;     Parent Loop BB0_85 Depth=2
                                        ;       Parent Loop BB0_131 Depth=3
                                        ; =>      This Inner Loop Header: Depth=4
	global_load_dwordx4 v[20:23], v[98:99], off slc
	s_add_i32 s29, s29, 1
	s_mov_b32 s11, -1
	s_cmpk_lg_i32 s29, 0x2710
	s_mov_b32 s40, -1
                                        ; implicit-def: $vgpr54
	s_cbranch_scc0 .LBB0_141
; %bb.140:                              ;   in Loop: Header=BB0_139 Depth=4
	s_or_b32 s28, s28, exec_lo
	s_and_saveexec_b32 s41, s40
	s_cbranch_execz .LBB0_138
	s_branch .LBB0_142
	.p2align	6
.LBB0_141:                              ;   in Loop: Header=BB0_139 Depth=4
	s_trap 2
	ds_read_b64 v[75:76], v0
	s_mov_b32 s29, 0
	s_waitcnt vmcnt(0) lgkmcnt(0)
	s_waitcnt_vscnt null, 0x0
	flat_load_dword v54, v[75:76] glc dlc
	s_waitcnt vmcnt(0) lgkmcnt(0)
	buffer_gl1_inv
	buffer_gl0_inv
	v_cmp_eq_u32_e32 vcc_lo, 0, v54
	s_orn2_b32 s40, vcc_lo, exec_lo
	s_or_b32 s28, s28, exec_lo
	s_and_saveexec_b32 s41, s40
	s_cbranch_execz .LBB0_138
.LBB0_142:                              ;   in Loop: Header=BB0_139 Depth=4
	s_waitcnt vmcnt(0)
	v_cmp_eq_u32_e32 vcc_lo, v59, v21
	v_cmp_eq_u32_e64 s11, v59, v23
	s_andn2_b32 s28, s28, exec_lo
	s_and_b32 s11, vcc_lo, s11
	s_orn2_b32 s11, s11, exec_lo
	s_branch .LBB0_138
.LBB0_143:                              ;   in Loop: Header=BB0_131 Depth=3
	s_inst_prefetch 0x2
	s_or_b32 exec_lo, exec_lo, s27
	v_mov_b32_e32 v45, 0
	s_and_saveexec_b32 s11, s26
	s_xor_b32 s11, exec_lo, s11
	s_cbranch_execz .LBB0_145
; %bb.144:                              ;   in Loop: Header=BB0_131 Depth=3
	v_mov_b32_e32 v45, 1
	s_waitcnt vmcnt(0)
	s_waitcnt_vscnt null, 0x0
	ds_write_b32 v0, v54
	s_trap 2
.LBB0_145:                              ;   in Loop: Header=BB0_131 Depth=3
	s_or_b32 exec_lo, exec_lo, s11
.LBB0_146:                              ;   in Loop: Header=BB0_131 Depth=3
	s_or_b32 exec_lo, exec_lo, s25
.LBB0_147:                              ;   in Loop: Header=BB0_131 Depth=3
	s_or_b32 exec_lo, exec_lo, s24
	s_waitcnt vmcnt(0)
	v_cmp_gt_i16_sdwa s24, v20, v40 src0_sel:BYTE_0 src1_sel:DWORD
	s_mov_b32 s11, 0
	s_and_saveexec_b32 s25, s24
	s_xor_b32 s24, exec_lo, s25
	s_cbranch_execnz .LBB0_273
; %bb.148:                              ;   in Loop: Header=BB0_131 Depth=3
	s_or_saveexec_b32 s24, s24
	v_mov_b32_e32 v21, 0x7f800001
	s_xor_b32 exec_lo, exec_lo, s24
	s_cbranch_execnz .LBB0_276
.LBB0_149:                              ;   in Loop: Header=BB0_131 Depth=3
	s_or_b32 exec_lo, exec_lo, s24
	s_and_saveexec_b32 s24, s11
	s_cbranch_execz .LBB0_151
.LBB0_150:                              ;   in Loop: Header=BB0_131 Depth=3
	v_and_b32_e32 v21, 3, v20
	v_bfe_u32 v85, v20, 2, 5
	v_lshlrev_b32_e32 v98, 24, v20
	v_ffbh_u32_e32 v23, v21
	v_cmp_eq_u32_e32 vcc_lo, 0, v85
	v_min_u32_e32 v23, 32, v23
	v_subrev_nc_u32_e32 v54, 29, v23
	v_sub_nc_u32_e32 v23, 30, v23
	v_lshlrev_b32_e32 v54, v54, v20
	v_cndmask_b32_e32 v23, v85, v23, vcc_lo
	v_and_b32_e32 v54, 3, v54
	v_lshl_add_u32 v23, v23, 23, 0x37800000
	v_cndmask_b32_e32 v21, v21, v54, vcc_lo
	v_and_b32_e32 v54, 0x80000000, v98
	v_lshlrev_b32_e32 v21, 21, v21
	v_or3_b32 v21, v54, v23, v21
.LBB0_151:                              ;   in Loop: Header=BB0_131 Depth=3
	s_or_b32 exec_lo, exec_lo, s24
	v_lshlrev_b32_e32 v54, 3, v86
	s_mov_b32 s11, 0
	v_alignbit_b32 v85, v74, v18, v54
	v_cmp_gt_i16_sdwa s24, v85, v40 src0_sel:BYTE_0 src1_sel:DWORD
	s_and_saveexec_b32 s25, s24
	s_xor_b32 s24, exec_lo, s25
	s_cbranch_execnz .LBB0_277
; %bb.152:                              ;   in Loop: Header=BB0_131 Depth=3
	s_or_saveexec_b32 s24, s24
	v_mov_b32_e32 v18, 0x7f800001
	s_xor_b32 exec_lo, exec_lo, s24
	s_cbranch_execnz .LBB0_280
.LBB0_153:                              ;   in Loop: Header=BB0_131 Depth=3
	s_or_b32 exec_lo, exec_lo, s24
	s_and_saveexec_b32 s24, s11
	s_cbranch_execz .LBB0_155
.LBB0_154:                              ;   in Loop: Header=BB0_131 Depth=3
	v_and_b32_e32 v18, 3, v85
	v_bfe_u32 v99, v85, 2, 5
	v_lshlrev_b32_e32 v75, 24, v85
	v_ffbh_u32_e32 v23, v18
	v_cmp_eq_u32_e32 vcc_lo, 0, v99
	v_min_u32_e32 v23, 32, v23
	v_subrev_nc_u32_e32 v98, 29, v23
	v_sub_nc_u32_e32 v23, 30, v23
	v_lshlrev_b32_e32 v98, v98, v85
	v_cndmask_b32_e32 v23, v99, v23, vcc_lo
	v_and_b32_e32 v98, 3, v98
	v_lshl_add_u32 v23, v23, 23, 0x37800000
	v_cndmask_b32_e32 v18, v18, v98, vcc_lo
	v_and_b32_e32 v98, 0x80000000, v75
	v_lshlrev_b32_e32 v18, 21, v18
	v_or3_b32 v18, v98, v23, v18
.LBB0_155:                              ;   in Loop: Header=BB0_131 Depth=3
	s_or_b32 exec_lo, exec_lo, s24
	v_mul_f32_e32 v21, v21, v18
	v_and_b32_e32 v18, 0x7f800000, v21
	v_cmp_ne_u32_e32 vcc_lo, 0x7f800000, v18
	v_mov_b32_e32 v18, 0x80
	s_and_saveexec_b32 s24, vcc_lo
	s_cbranch_execz .LBB0_163
; %bb.156:                              ;   in Loop: Header=BB0_131 Depth=3
	v_mov_b32_e32 v18, 0
	s_mov_b32 s25, exec_lo
	v_cmpx_ne_u32_e32 0, v21
	s_cbranch_execz .LBB0_162
; %bb.157:                              ;   in Loop: Header=BB0_131 Depth=3
	v_bfe_u32 v18, v21, 23, 8
	v_and_b32_e32 v23, 0x7fffff, v21
	v_sub_nc_u32_e32 v98, 0x70, v18
	v_cmp_gt_u32_e32 vcc_lo, 0x71, v18
	v_or_b32_e32 v99, 0x800000, v23
	v_cndmask_b32_e32 v98, 0, v98, vcc_lo
	v_cmp_eq_u32_e32 vcc_lo, 0, v18
	v_add_nc_u32_e32 v18, 0xffffff91, v18
	v_cndmask_b32_e64 v98, v98, 0x6f, vcc_lo
	v_cndmask_b32_e32 v23, v99, v23, vcc_lo
	v_cndmask_b32_e64 v18, v18, 0xffffff92, vcc_lo
	v_lshl_add_u32 v99, 0x200000, v98, -1
	v_lshrrev_b32_e32 v75, v98, v23
	v_lshlrev_b32_e64 v77, v98, 0x100000
	v_add_nc_u32_e32 v98, v98, v18
	v_and_b32_e32 v23, v99, v23
	v_bfe_u32 v76, v75, 21, 1
	v_cmp_eq_u32_e64 s11, v23, v77
	v_add_nc_u32_e32 v99, -1, v76
	v_cndmask_b32_e64 v23, 0, v99, s11
	v_lshrrev_b32_e32 v99, 23, v75
	s_mov_b32 s11, exec_lo
	v_add_nc_u32_e32 v23, v23, v75
	v_xor_b32_e32 v99, 1, v99
	v_and_b32_e32 v18, 0x1fffff, v23
	v_add_nc_u32_e32 v23, v18, v75
                                        ; implicit-def: $vgpr18
	v_cmpx_ne_u32_e64 v98, v99
	s_xor_b32 s11, exec_lo, s11
; %bb.158:                              ;   in Loop: Header=BB0_131 Depth=3
	v_cmp_lt_u32_e32 vcc_lo, 0xffffff, v23
	v_sub_nc_u32_e32 v18, v98, v99
	v_cndmask_b32_e64 v98, 0, 1, vcc_lo
	v_add_co_ci_u32_e64 v18, null, 0, v18, vcc_lo
	v_lshrrev_b32_e32 v23, v98, v23
; %bb.159:                              ;   in Loop: Header=BB0_131 Depth=3
	s_andn2_saveexec_b32 s11, s11
; %bb.160:                              ;   in Loop: Header=BB0_131 Depth=3
	v_bfe_u32 v18, v23, 23, 1
; %bb.161:                              ;   in Loop: Header=BB0_131 Depth=3
	s_or_b32 exec_lo, exec_lo, s11
	v_lshrrev_b32_e32 v23, 21, v23
	v_min_i32_e32 v98, 31, v18
	v_cmp_gt_i32_e32 vcc_lo, 32, v18
	v_and_b32_sdwa v21, v21, v41 dst_sel:DWORD dst_unused:UNUSED_PAD src0_sel:BYTE_3 src1_sel:DWORD
	v_lshlrev_b32_e32 v98, 2, v98
	v_cndmask_b32_e32 v23, 3, v23, vcc_lo
	v_and_b32_e32 v98, 0xfc, v98
	v_and_b32_e32 v99, 3, v23
	v_or_b32_e32 v18, v18, v23
	v_or3_b32 v21, v98, v21, v99
	v_cmp_ne_u32_e32 vcc_lo, 0, v18
	v_cndmask_b32_e32 v18, 0, v21, vcc_lo
.LBB0_162:                              ;   in Loop: Header=BB0_131 Depth=3
	s_or_b32 exec_lo, exec_lo, s25
.LBB0_163:                              ;   in Loop: Header=BB0_131 Depth=3
	s_or_b32 exec_lo, exec_lo, s24
	v_cmp_gt_i16_sdwa s24, v20, v40 src0_sel:BYTE_1 src1_sel:DWORD
	s_mov_b32 s11, 0
	s_and_saveexec_b32 s25, s24
	s_xor_b32 s24, exec_lo, s25
	s_cbranch_execnz .LBB0_281
; %bb.164:                              ;   in Loop: Header=BB0_131 Depth=3
	s_or_saveexec_b32 s24, s24
	v_mov_b32_e32 v21, 0x7f800001
	s_xor_b32 exec_lo, exec_lo, s24
	s_cbranch_execnz .LBB0_284
.LBB0_165:                              ;   in Loop: Header=BB0_131 Depth=3
	s_or_b32 exec_lo, exec_lo, s24
	s_and_saveexec_b32 s24, s11
	s_cbranch_execz .LBB0_167
.LBB0_166:                              ;   in Loop: Header=BB0_131 Depth=3
	v_and_b32_sdwa v21, v42, v20 dst_sel:DWORD dst_unused:UNUSED_PAD src0_sel:DWORD src1_sel:BYTE_1
	v_and_b32_e32 v23, 3, v21
	v_bfe_u32 v75, v21, 2, 5
	v_ffbh_u32_e32 v98, v23
	v_cmp_eq_u32_e32 vcc_lo, 0, v75
	v_min_u32_e32 v98, 32, v98
	v_subrev_nc_u32_e32 v99, 29, v98
	v_sub_nc_u32_e32 v98, 30, v98
	v_lshlrev_b32_e32 v21, v99, v21
	v_lshlrev_b32_sdwa v99, v43, v20 dst_sel:DWORD dst_unused:UNUSED_PAD src0_sel:DWORD src1_sel:BYTE_1
	v_cndmask_b32_e32 v98, v75, v98, vcc_lo
	v_and_b32_e32 v21, 3, v21
	v_lshl_add_u32 v98, v98, 23, 0x37800000
	v_cndmask_b32_e32 v21, v23, v21, vcc_lo
	v_and_b32_e32 v23, 0x80000000, v99
	v_lshlrev_b32_e32 v21, 21, v21
	v_or3_b32 v21, v23, v98, v21
.LBB0_167:                              ;   in Loop: Header=BB0_131 Depth=3
	s_or_b32 exec_lo, exec_lo, s24
	v_cmp_gt_i16_sdwa s24, v85, v40 src0_sel:BYTE_1 src1_sel:DWORD
	s_mov_b32 s11, 0
	s_and_saveexec_b32 s25, s24
	s_xor_b32 s24, exec_lo, s25
	s_cbranch_execnz .LBB0_285
; %bb.168:                              ;   in Loop: Header=BB0_131 Depth=3
	s_or_saveexec_b32 s24, s24
	v_mov_b32_e32 v23, 0x7f800001
	s_xor_b32 exec_lo, exec_lo, s24
	s_cbranch_execnz .LBB0_288
.LBB0_169:                              ;   in Loop: Header=BB0_131 Depth=3
	s_or_b32 exec_lo, exec_lo, s24
	s_and_saveexec_b32 s24, s11
	s_cbranch_execz .LBB0_171
.LBB0_170:                              ;   in Loop: Header=BB0_131 Depth=3
	v_and_b32_sdwa v23, v42, v85 dst_sel:DWORD dst_unused:UNUSED_PAD src0_sel:DWORD src1_sel:BYTE_1
	v_and_b32_e32 v98, 3, v23
	v_bfe_u32 v76, v23, 2, 5
	v_ffbh_u32_e32 v99, v98
	v_cmp_eq_u32_e32 vcc_lo, 0, v76
	v_min_u32_e32 v99, 32, v99
	v_subrev_nc_u32_e32 v75, 29, v99
	v_sub_nc_u32_e32 v99, 30, v99
	v_lshlrev_b32_e32 v23, v75, v23
	v_lshlrev_b32_sdwa v75, v43, v85 dst_sel:DWORD dst_unused:UNUSED_PAD src0_sel:DWORD src1_sel:BYTE_1
	v_cndmask_b32_e32 v99, v76, v99, vcc_lo
	v_and_b32_e32 v23, 3, v23
	v_lshl_add_u32 v99, v99, 23, 0x37800000
	v_cndmask_b32_e32 v23, v98, v23, vcc_lo
	v_and_b32_e32 v98, 0x80000000, v75
	v_lshlrev_b32_e32 v23, 21, v23
	v_or3_b32 v23, v98, v99, v23
.LBB0_171:                              ;   in Loop: Header=BB0_131 Depth=3
	s_or_b32 exec_lo, exec_lo, s24
	v_mul_f32_e32 v23, v21, v23
	v_and_b32_e32 v21, 0x7f800000, v23
	v_cmp_ne_u32_e32 vcc_lo, 0x7f800000, v21
	v_mov_b32_e32 v21, 0x8000
	s_and_saveexec_b32 s24, vcc_lo
	s_cbranch_execz .LBB0_179
; %bb.172:                              ;   in Loop: Header=BB0_131 Depth=3
	v_mov_b32_e32 v21, 0
	s_mov_b32 s25, exec_lo
	v_cmpx_ne_u32_e32 0, v23
	s_cbranch_execz .LBB0_178
; %bb.173:                              ;   in Loop: Header=BB0_131 Depth=3
	v_bfe_u32 v21, v23, 23, 8
	v_and_b32_e32 v98, 0x7fffff, v23
	v_sub_nc_u32_e32 v99, 0x70, v21
	v_cmp_gt_u32_e32 vcc_lo, 0x71, v21
	v_or_b32_e32 v75, 0x800000, v98
	v_cndmask_b32_e32 v99, 0, v99, vcc_lo
	v_cmp_eq_u32_e32 vcc_lo, 0, v21
	v_add_nc_u32_e32 v21, 0xffffff91, v21
	v_cndmask_b32_e64 v99, v99, 0x6f, vcc_lo
	v_cndmask_b32_e32 v98, v75, v98, vcc_lo
	v_cndmask_b32_e64 v21, v21, 0xffffff92, vcc_lo
	v_lshl_add_u32 v75, 0x200000, v99, -1
	v_lshrrev_b32_e32 v76, v99, v98
	v_lshlrev_b32_e64 v78, v99, 0x100000
	v_add_nc_u32_e32 v99, v99, v21
	v_and_b32_e32 v98, v75, v98
	v_bfe_u32 v77, v76, 21, 1
	v_cmp_eq_u32_e64 s11, v98, v78
	v_add_nc_u32_e32 v75, -1, v77
	v_cndmask_b32_e64 v98, 0, v75, s11
	v_lshrrev_b32_e32 v75, 23, v76
	s_mov_b32 s11, exec_lo
	v_add_nc_u32_e32 v98, v98, v76
	v_xor_b32_e32 v75, 1, v75
	v_and_b32_e32 v21, 0x1fffff, v98
	v_add_nc_u32_e32 v98, v21, v76
                                        ; implicit-def: $vgpr21
	v_cmpx_ne_u32_e64 v99, v75
	s_xor_b32 s11, exec_lo, s11
; %bb.174:                              ;   in Loop: Header=BB0_131 Depth=3
	v_cmp_lt_u32_e32 vcc_lo, 0xffffff, v98
	v_sub_nc_u32_e32 v21, v99, v75
	v_cndmask_b32_e64 v99, 0, 1, vcc_lo
	v_add_co_ci_u32_e64 v21, null, 0, v21, vcc_lo
	v_lshrrev_b32_e32 v98, v99, v98
; %bb.175:                              ;   in Loop: Header=BB0_131 Depth=3
	s_andn2_saveexec_b32 s11, s11
; %bb.176:                              ;   in Loop: Header=BB0_131 Depth=3
	v_bfe_u32 v21, v98, 23, 1
; %bb.177:                              ;   in Loop: Header=BB0_131 Depth=3
	s_or_b32 exec_lo, exec_lo, s11
	v_lshrrev_b32_e32 v98, 21, v98
	v_min_i32_e32 v99, 31, v21
	v_cmp_gt_i32_e32 vcc_lo, 32, v21
	v_and_b32_sdwa v23, v23, v41 dst_sel:DWORD dst_unused:UNUSED_PAD src0_sel:BYTE_3 src1_sel:DWORD
	v_lshlrev_b32_e32 v99, 2, v99
	v_cndmask_b32_e32 v98, 3, v98, vcc_lo
	v_and_b32_e32 v99, 0xfc, v99
	v_and_b32_e32 v75, 3, v98
	v_or_b32_e32 v21, v21, v98
	v_or3_b32 v23, v23, v99, v75
	v_cmp_ne_u32_e32 vcc_lo, 0, v21
	v_lshlrev_b32_e32 v23, 8, v23
	v_cndmask_b32_e32 v21, 0, v23, vcc_lo
.LBB0_178:                              ;   in Loop: Header=BB0_131 Depth=3
	s_or_b32 exec_lo, exec_lo, s25
.LBB0_179:                              ;   in Loop: Header=BB0_131 Depth=3
	s_or_b32 exec_lo, exec_lo, s24
	v_and_b32_sdwa v98, v20, v44 dst_sel:DWORD dst_unused:UNUSED_PAD src0_sel:WORD_1 src1_sel:DWORD
	s_mov_b32 s11, 0
	s_mov_b32 s24, exec_lo
	v_cmpx_lt_i16_e32 0x7f, v98
	s_xor_b32 s24, exec_lo, s24
	s_cbranch_execnz .LBB0_289
; %bb.180:                              ;   in Loop: Header=BB0_131 Depth=3
	s_or_saveexec_b32 s24, s24
	v_mov_b32_e32 v23, 0x7f800001
	s_xor_b32 exec_lo, exec_lo, s24
	s_cbranch_execnz .LBB0_292
.LBB0_181:                              ;   in Loop: Header=BB0_131 Depth=3
	s_or_b32 exec_lo, exec_lo, s24
	s_and_saveexec_b32 s24, s11
	s_cbranch_execz .LBB0_183
.LBB0_182:                              ;   in Loop: Header=BB0_131 Depth=3
	v_bfe_u32 v23, v20, 16, 2
	v_bfe_u32 v75, v20, 18, 5
	v_lshlrev_b32_e32 v76, 8, v20
	v_ffbh_u32_e32 v98, v23
	v_cmp_eq_u32_e32 vcc_lo, 0, v75
	v_min_u32_e32 v98, 32, v98
	v_subrev_nc_u32_e32 v99, 29, v98
	v_sub_nc_u32_e32 v98, 30, v98
	v_lshlrev_b32_sdwa v99, v99, v20 dst_sel:DWORD dst_unused:UNUSED_PAD src0_sel:DWORD src1_sel:WORD_1
	v_cndmask_b32_e32 v98, v75, v98, vcc_lo
	v_and_b32_e32 v99, 3, v99
	v_lshl_add_u32 v98, v98, 23, 0x37800000
	v_cndmask_b32_e32 v23, v23, v99, vcc_lo
	v_and_b32_e32 v99, 0x80000000, v76
	v_lshlrev_b32_e32 v23, 21, v23
	v_or3_b32 v23, v99, v98, v23
.LBB0_183:                              ;   in Loop: Header=BB0_131 Depth=3
	s_or_b32 exec_lo, exec_lo, s24
	v_and_b32_sdwa v99, v85, v44 dst_sel:DWORD dst_unused:UNUSED_PAD src0_sel:WORD_1 src1_sel:DWORD
	s_mov_b32 s11, 0
	s_mov_b32 s24, exec_lo
	v_cmpx_lt_i16_e32 0x7f, v99
	s_xor_b32 s24, exec_lo, s24
	s_cbranch_execnz .LBB0_293
; %bb.184:                              ;   in Loop: Header=BB0_131 Depth=3
	s_or_saveexec_b32 s24, s24
	v_mov_b32_e32 v98, 0x7f800001
	s_xor_b32 exec_lo, exec_lo, s24
	s_cbranch_execnz .LBB0_296
.LBB0_185:                              ;   in Loop: Header=BB0_131 Depth=3
	s_or_b32 exec_lo, exec_lo, s24
	s_and_saveexec_b32 s24, s11
	s_cbranch_execz .LBB0_187
.LBB0_186:                              ;   in Loop: Header=BB0_131 Depth=3
	v_bfe_u32 v98, v85, 16, 2
	v_bfe_u32 v76, v85, 18, 5
	v_lshlrev_b32_e32 v77, 8, v85
	v_ffbh_u32_e32 v99, v98
	v_cmp_eq_u32_e32 vcc_lo, 0, v76
	v_min_u32_e32 v99, 32, v99
	v_subrev_nc_u32_e32 v75, 29, v99
	v_sub_nc_u32_e32 v99, 30, v99
	v_lshlrev_b32_sdwa v75, v75, v85 dst_sel:DWORD dst_unused:UNUSED_PAD src0_sel:DWORD src1_sel:WORD_1
	v_cndmask_b32_e32 v99, v76, v99, vcc_lo
	v_and_b32_e32 v75, 3, v75
	v_lshl_add_u32 v99, v99, 23, 0x37800000
	v_cndmask_b32_e32 v98, v98, v75, vcc_lo
	v_and_b32_e32 v75, 0x80000000, v77
	v_lshlrev_b32_e32 v98, 21, v98
	v_or3_b32 v98, v75, v99, v98
.LBB0_187:                              ;   in Loop: Header=BB0_131 Depth=3
	s_or_b32 exec_lo, exec_lo, s24
	v_mul_f32_e32 v98, v23, v98
	v_and_b32_e32 v23, 0x7f800000, v98
	v_cmp_ne_u32_e32 vcc_lo, 0x7f800000, v23
	v_mov_b32_e32 v23, 0x80
	s_and_saveexec_b32 s24, vcc_lo
	s_cbranch_execz .LBB0_195
; %bb.188:                              ;   in Loop: Header=BB0_131 Depth=3
	v_mov_b32_e32 v23, 0
	s_mov_b32 s25, exec_lo
	v_cmpx_ne_u32_e32 0, v98
	s_cbranch_execz .LBB0_194
; %bb.189:                              ;   in Loop: Header=BB0_131 Depth=3
	v_bfe_u32 v23, v98, 23, 8
	v_and_b32_e32 v99, 0x7fffff, v98
	v_sub_nc_u32_e32 v75, 0x70, v23
	v_cmp_gt_u32_e32 vcc_lo, 0x71, v23
	v_or_b32_e32 v76, 0x800000, v99
	v_cndmask_b32_e32 v75, 0, v75, vcc_lo
	v_cmp_eq_u32_e32 vcc_lo, 0, v23
	v_add_nc_u32_e32 v23, 0xffffff91, v23
	v_cndmask_b32_e64 v75, v75, 0x6f, vcc_lo
	v_cndmask_b32_e32 v99, v76, v99, vcc_lo
	v_cndmask_b32_e64 v23, v23, 0xffffff92, vcc_lo
	v_lshl_add_u32 v76, 0x200000, v75, -1
	v_lshrrev_b32_e32 v77, v75, v99
	v_lshlrev_b32_e64 v79, v75, 0x100000
	v_add_nc_u32_e32 v75, v75, v23
	v_and_b32_e32 v99, v76, v99
	v_bfe_u32 v78, v77, 21, 1
	v_cmp_eq_u32_e64 s11, v99, v79
	v_add_nc_u32_e32 v76, -1, v78
	v_cndmask_b32_e64 v99, 0, v76, s11
	v_lshrrev_b32_e32 v76, 23, v77
	s_mov_b32 s11, exec_lo
	v_add_nc_u32_e32 v99, v99, v77
	v_xor_b32_e32 v76, 1, v76
	v_and_b32_e32 v23, 0x1fffff, v99
	v_add_nc_u32_e32 v99, v23, v77
                                        ; implicit-def: $vgpr23
	v_cmpx_ne_u32_e64 v75, v76
	s_xor_b32 s11, exec_lo, s11
; %bb.190:                              ;   in Loop: Header=BB0_131 Depth=3
	v_cmp_lt_u32_e32 vcc_lo, 0xffffff, v99
	v_sub_nc_u32_e32 v23, v75, v76
	v_cndmask_b32_e64 v75, 0, 1, vcc_lo
	v_add_co_ci_u32_e64 v23, null, 0, v23, vcc_lo
	v_lshrrev_b32_e32 v99, v75, v99
; %bb.191:                              ;   in Loop: Header=BB0_131 Depth=3
	s_andn2_saveexec_b32 s11, s11
; %bb.192:                              ;   in Loop: Header=BB0_131 Depth=3
	v_bfe_u32 v23, v99, 23, 1
; %bb.193:                              ;   in Loop: Header=BB0_131 Depth=3
	s_or_b32 exec_lo, exec_lo, s11
	v_lshrrev_b32_e32 v99, 21, v99
	v_min_i32_e32 v75, 31, v23
	v_cmp_gt_i32_e32 vcc_lo, 32, v23
	v_and_b32_sdwa v98, v98, v41 dst_sel:DWORD dst_unused:UNUSED_PAD src0_sel:BYTE_3 src1_sel:DWORD
	v_lshlrev_b32_e32 v75, 2, v75
	v_cndmask_b32_e32 v99, 3, v99, vcc_lo
	v_and_b32_e32 v75, 0xfc, v75
	v_and_b32_e32 v76, 3, v99
	v_or_b32_e32 v23, v23, v99
	v_or3_b32 v98, v75, v98, v76
	v_cmp_ne_u32_e32 vcc_lo, 0, v23
	v_cndmask_b32_e32 v23, 0, v98, vcc_lo
.LBB0_194:                              ;   in Loop: Header=BB0_131 Depth=3
	s_or_b32 exec_lo, exec_lo, s25
.LBB0_195:                              ;   in Loop: Header=BB0_131 Depth=3
	s_or_b32 exec_lo, exec_lo, s24
	v_cmp_gt_i16_sdwa s24, v20, v40 src0_sel:BYTE_3 src1_sel:DWORD
	s_mov_b32 s11, 0
	s_and_saveexec_b32 s25, s24
	s_xor_b32 s24, exec_lo, s25
	s_cbranch_execnz .LBB0_297
; %bb.196:                              ;   in Loop: Header=BB0_131 Depth=3
	s_or_saveexec_b32 s24, s24
	v_mov_b32_e32 v98, 0x7f800001
	s_xor_b32 exec_lo, exec_lo, s24
	s_cbranch_execnz .LBB0_300
.LBB0_197:                              ;   in Loop: Header=BB0_131 Depth=3
	s_or_b32 exec_lo, exec_lo, s24
	s_and_saveexec_b32 s24, s11
	s_cbranch_execz .LBB0_199
.LBB0_198:                              ;   in Loop: Header=BB0_131 Depth=3
	v_bfe_u32 v98, v20, 24, 2
	v_bfe_u32 v76, v20, 26, 5
	v_ffbh_u32_e32 v99, v98
	v_cmp_eq_u32_e32 vcc_lo, 0, v76
	v_min_u32_e32 v99, 32, v99
	v_subrev_nc_u32_e32 v75, 29, v99
	v_sub_nc_u32_e32 v99, 30, v99
	v_lshlrev_b32_sdwa v75, v75, v20 dst_sel:DWORD dst_unused:UNUSED_PAD src0_sel:DWORD src1_sel:BYTE_3
	v_cndmask_b32_e32 v99, v76, v99, vcc_lo
	v_and_b32_e32 v20, 0x80000000, v20
	v_and_b32_e32 v75, 3, v75
	v_lshl_add_u32 v99, v99, 23, 0x37800000
	v_cndmask_b32_e32 v98, v98, v75, vcc_lo
	v_lshlrev_b32_e32 v98, 21, v98
	v_or3_b32 v98, v20, v99, v98
.LBB0_199:                              ;   in Loop: Header=BB0_131 Depth=3
	s_or_b32 exec_lo, exec_lo, s24
	v_cmp_gt_i16_sdwa s24, v85, v40 src0_sel:BYTE_3 src1_sel:DWORD
	s_mov_b32 s11, 0
	s_and_saveexec_b32 s25, s24
	s_xor_b32 s24, exec_lo, s25
	s_cbranch_execnz .LBB0_301
; %bb.200:                              ;   in Loop: Header=BB0_131 Depth=3
	s_or_saveexec_b32 s24, s24
	v_mov_b32_e32 v20, 0x7f800001
	s_xor_b32 exec_lo, exec_lo, s24
	s_cbranch_execnz .LBB0_304
.LBB0_201:                              ;   in Loop: Header=BB0_131 Depth=3
	s_or_b32 exec_lo, exec_lo, s24
	s_and_saveexec_b32 s24, s11
	s_cbranch_execz .LBB0_203
.LBB0_202:                              ;   in Loop: Header=BB0_131 Depth=3
	v_bfe_u32 v20, v85, 24, 2
	v_bfe_u32 v76, v85, 26, 5
	v_ffbh_u32_e32 v99, v20
	v_cmp_eq_u32_e32 vcc_lo, 0, v76
	v_min_u32_e32 v99, 32, v99
	v_subrev_nc_u32_e32 v75, 29, v99
	v_sub_nc_u32_e32 v99, 30, v99
	v_lshlrev_b32_sdwa v75, v75, v85 dst_sel:DWORD dst_unused:UNUSED_PAD src0_sel:DWORD src1_sel:BYTE_3
	v_cndmask_b32_e32 v99, v76, v99, vcc_lo
	v_and_b32_e32 v85, 0x80000000, v85
	v_and_b32_e32 v75, 3, v75
	v_lshl_add_u32 v99, v99, 23, 0x37800000
	v_cndmask_b32_e32 v20, v20, v75, vcc_lo
	v_lshlrev_b32_e32 v20, 21, v20
	v_or3_b32 v20, v85, v99, v20
.LBB0_203:                              ;   in Loop: Header=BB0_131 Depth=3
	s_or_b32 exec_lo, exec_lo, s24
	v_mul_f32_e32 v85, v98, v20
	v_and_b32_e32 v20, 0x7f800000, v85
	v_cmp_ne_u32_e32 vcc_lo, 0x7f800000, v20
	v_mov_b32_e32 v20, 0x8000
	s_and_saveexec_b32 s24, vcc_lo
	s_cbranch_execz .LBB0_211
; %bb.204:                              ;   in Loop: Header=BB0_131 Depth=3
	v_mov_b32_e32 v20, 0
	s_mov_b32 s25, exec_lo
	v_cmpx_ne_u32_e32 0, v85
	s_cbranch_execz .LBB0_210
; %bb.205:                              ;   in Loop: Header=BB0_131 Depth=3
	v_bfe_u32 v20, v85, 23, 8
	v_and_b32_e32 v98, 0x7fffff, v85
	v_sub_nc_u32_e32 v99, 0x70, v20
	v_cmp_gt_u32_e32 vcc_lo, 0x71, v20
	v_or_b32_e32 v75, 0x800000, v98
	v_cndmask_b32_e32 v99, 0, v99, vcc_lo
	v_cmp_eq_u32_e32 vcc_lo, 0, v20
	v_add_nc_u32_e32 v20, 0xffffff91, v20
	v_cndmask_b32_e64 v99, v99, 0x6f, vcc_lo
	v_cndmask_b32_e32 v98, v75, v98, vcc_lo
	v_cndmask_b32_e64 v20, v20, 0xffffff92, vcc_lo
	v_lshl_add_u32 v75, 0x200000, v99, -1
	v_lshrrev_b32_e32 v76, v99, v98
	v_lshlrev_b32_e64 v78, v99, 0x100000
	v_add_nc_u32_e32 v99, v99, v20
	v_and_b32_e32 v98, v75, v98
	v_bfe_u32 v77, v76, 21, 1
	v_cmp_eq_u32_e64 s11, v98, v78
	v_add_nc_u32_e32 v75, -1, v77
	v_cndmask_b32_e64 v98, 0, v75, s11
	v_lshrrev_b32_e32 v75, 23, v76
	s_mov_b32 s11, exec_lo
	v_add_nc_u32_e32 v98, v98, v76
	v_xor_b32_e32 v75, 1, v75
	v_and_b32_e32 v20, 0x1fffff, v98
	v_add_nc_u32_e32 v98, v20, v76
                                        ; implicit-def: $vgpr20
	v_cmpx_ne_u32_e64 v99, v75
	s_xor_b32 s11, exec_lo, s11
; %bb.206:                              ;   in Loop: Header=BB0_131 Depth=3
	v_cmp_lt_u32_e32 vcc_lo, 0xffffff, v98
	v_sub_nc_u32_e32 v20, v99, v75
	v_cndmask_b32_e64 v99, 0, 1, vcc_lo
	v_add_co_ci_u32_e64 v20, null, 0, v20, vcc_lo
	v_lshrrev_b32_e32 v98, v99, v98
; %bb.207:                              ;   in Loop: Header=BB0_131 Depth=3
	s_andn2_saveexec_b32 s11, s11
; %bb.208:                              ;   in Loop: Header=BB0_131 Depth=3
	v_bfe_u32 v20, v98, 23, 1
; %bb.209:                              ;   in Loop: Header=BB0_131 Depth=3
	s_or_b32 exec_lo, exec_lo, s11
	v_lshrrev_b32_e32 v98, 21, v98
	v_min_i32_e32 v99, 31, v20
	v_cmp_gt_i32_e32 vcc_lo, 32, v20
	v_and_b32_sdwa v85, v85, v41 dst_sel:DWORD dst_unused:UNUSED_PAD src0_sel:BYTE_3 src1_sel:DWORD
	v_lshlrev_b32_e32 v99, 2, v99
	v_cndmask_b32_e32 v98, 3, v98, vcc_lo
	v_and_b32_e32 v99, 0xfc, v99
	v_and_b32_e32 v75, 3, v98
	v_or_b32_e32 v20, v20, v98
	v_or3_b32 v85, v85, v99, v75
	v_cmp_ne_u32_e32 vcc_lo, 0, v20
	v_lshlrev_b32_e32 v85, 8, v85
	v_cndmask_b32_e32 v20, 0, v85, vcc_lo
.LBB0_210:                              ;   in Loop: Header=BB0_131 Depth=3
	s_or_b32 exec_lo, exec_lo, s25
.LBB0_211:                              ;   in Loop: Header=BB0_131 Depth=3
	s_or_b32 exec_lo, exec_lo, s24
	v_cmp_gt_i16_sdwa s24, v22, v40 src0_sel:BYTE_0 src1_sel:DWORD
	s_mov_b32 s11, 0
	s_and_saveexec_b32 s25, s24
	s_xor_b32 s24, exec_lo, s25
	s_cbranch_execnz .LBB0_305
; %bb.212:                              ;   in Loop: Header=BB0_131 Depth=3
	s_or_saveexec_b32 s24, s24
	v_mov_b32_e32 v85, 0x7f800001
	s_xor_b32 exec_lo, exec_lo, s24
	s_cbranch_execnz .LBB0_308
.LBB0_213:                              ;   in Loop: Header=BB0_131 Depth=3
	s_or_b32 exec_lo, exec_lo, s24
	s_and_saveexec_b32 s24, s11
	s_cbranch_execz .LBB0_215
.LBB0_214:                              ;   in Loop: Header=BB0_131 Depth=3
	v_and_b32_e32 v85, 3, v22
	v_bfe_u32 v75, v22, 2, 5
	v_lshlrev_b32_e32 v76, 24, v22
	v_ffbh_u32_e32 v98, v85
	v_cmp_eq_u32_e32 vcc_lo, 0, v75
	v_min_u32_e32 v98, 32, v98
	v_subrev_nc_u32_e32 v99, 29, v98
	v_sub_nc_u32_e32 v98, 30, v98
	v_lshlrev_b32_e32 v99, v99, v22
	v_cndmask_b32_e32 v98, v75, v98, vcc_lo
	v_and_b32_e32 v99, 3, v99
	v_lshl_add_u32 v98, v98, 23, 0x37800000
	v_cndmask_b32_e32 v85, v85, v99, vcc_lo
	v_and_b32_e32 v99, 0x80000000, v76
	v_lshlrev_b32_e32 v85, 21, v85
	v_or3_b32 v85, v99, v98, v85
.LBB0_215:                              ;   in Loop: Header=BB0_131 Depth=3
	s_or_b32 exec_lo, exec_lo, s24
	v_alignbit_b32 v54, v73, v74, v54
	s_mov_b32 s11, 0
	v_cmp_gt_i16_sdwa s24, v54, v40 src0_sel:BYTE_0 src1_sel:DWORD
	s_and_saveexec_b32 s25, s24
	s_xor_b32 s24, exec_lo, s25
	s_cbranch_execnz .LBB0_309
; %bb.216:                              ;   in Loop: Header=BB0_131 Depth=3
	s_or_saveexec_b32 s24, s24
	v_mov_b32_e32 v98, 0x7f800001
	s_xor_b32 exec_lo, exec_lo, s24
	s_cbranch_execnz .LBB0_312
.LBB0_217:                              ;   in Loop: Header=BB0_131 Depth=3
	s_or_b32 exec_lo, exec_lo, s24
	s_and_saveexec_b32 s24, s11
	s_cbranch_execz .LBB0_219
.LBB0_218:                              ;   in Loop: Header=BB0_131 Depth=3
	v_and_b32_e32 v98, 3, v54
	v_bfe_u32 v74, v54, 2, 5
	v_lshlrev_b32_e32 v75, 24, v54
	v_ffbh_u32_e32 v99, v98
	v_cmp_eq_u32_e32 vcc_lo, 0, v74
	v_min_u32_e32 v99, 32, v99
	v_subrev_nc_u32_e32 v73, 29, v99
	v_sub_nc_u32_e32 v99, 30, v99
	v_lshlrev_b32_e32 v73, v73, v54
	v_cndmask_b32_e32 v99, v74, v99, vcc_lo
	v_and_b32_e32 v73, 3, v73
	v_lshl_add_u32 v99, v99, 23, 0x37800000
	v_cndmask_b32_e32 v98, v98, v73, vcc_lo
	v_and_b32_e32 v73, 0x80000000, v75
	v_lshlrev_b32_e32 v98, 21, v98
	v_or3_b32 v98, v73, v99, v98
.LBB0_219:                              ;   in Loop: Header=BB0_131 Depth=3
	s_or_b32 exec_lo, exec_lo, s24
	v_mul_f32_e32 v98, v85, v98
	v_and_b32_e32 v85, 0x7f800000, v98
	v_cmp_ne_u32_e32 vcc_lo, 0x7f800000, v85
	v_mov_b32_e32 v85, 0x80
	s_and_saveexec_b32 s24, vcc_lo
	s_cbranch_execz .LBB0_227
; %bb.220:                              ;   in Loop: Header=BB0_131 Depth=3
	v_mov_b32_e32 v85, 0
	s_mov_b32 s25, exec_lo
	v_cmpx_ne_u32_e32 0, v98
	s_cbranch_execz .LBB0_226
; %bb.221:                              ;   in Loop: Header=BB0_131 Depth=3
	v_bfe_u32 v85, v98, 23, 8
	v_and_b32_e32 v99, 0x7fffff, v98
	v_sub_nc_u32_e32 v73, 0x70, v85
	v_cmp_gt_u32_e32 vcc_lo, 0x71, v85
	v_or_b32_e32 v74, 0x800000, v99
	v_cndmask_b32_e32 v73, 0, v73, vcc_lo
	v_cmp_eq_u32_e32 vcc_lo, 0, v85
	v_add_nc_u32_e32 v85, 0xffffff91, v85
	v_cndmask_b32_e64 v73, v73, 0x6f, vcc_lo
	v_cndmask_b32_e32 v99, v74, v99, vcc_lo
	v_cndmask_b32_e64 v85, v85, 0xffffff92, vcc_lo
	v_lshl_add_u32 v74, 0x200000, v73, -1
	v_lshrrev_b32_e32 v75, v73, v99
	v_lshlrev_b32_e64 v77, v73, 0x100000
	v_add_nc_u32_e32 v73, v73, v85
	v_and_b32_e32 v99, v74, v99
	v_bfe_u32 v76, v75, 21, 1
	v_cmp_eq_u32_e64 s11, v99, v77
	v_add_nc_u32_e32 v74, -1, v76
	v_cndmask_b32_e64 v99, 0, v74, s11
	v_lshrrev_b32_e32 v74, 23, v75
	s_mov_b32 s11, exec_lo
	v_add_nc_u32_e32 v99, v99, v75
	v_xor_b32_e32 v74, 1, v74
	v_and_b32_e32 v85, 0x1fffff, v99
	v_add_nc_u32_e32 v99, v85, v75
                                        ; implicit-def: $vgpr85
	v_cmpx_ne_u32_e64 v73, v74
	s_xor_b32 s11, exec_lo, s11
; %bb.222:                              ;   in Loop: Header=BB0_131 Depth=3
	v_cmp_lt_u32_e32 vcc_lo, 0xffffff, v99
	v_sub_nc_u32_e32 v85, v73, v74
	v_cndmask_b32_e64 v73, 0, 1, vcc_lo
	v_add_co_ci_u32_e64 v85, null, 0, v85, vcc_lo
	v_lshrrev_b32_e32 v99, v73, v99
; %bb.223:                              ;   in Loop: Header=BB0_131 Depth=3
	s_andn2_saveexec_b32 s11, s11
; %bb.224:                              ;   in Loop: Header=BB0_131 Depth=3
	v_bfe_u32 v85, v99, 23, 1
; %bb.225:                              ;   in Loop: Header=BB0_131 Depth=3
	s_or_b32 exec_lo, exec_lo, s11
	v_lshrrev_b32_e32 v99, 21, v99
	v_min_i32_e32 v73, 31, v85
	v_cmp_gt_i32_e32 vcc_lo, 32, v85
	v_and_b32_sdwa v98, v98, v41 dst_sel:DWORD dst_unused:UNUSED_PAD src0_sel:BYTE_3 src1_sel:DWORD
	v_lshlrev_b32_e32 v73, 2, v73
	v_cndmask_b32_e32 v99, 3, v99, vcc_lo
	v_and_b32_e32 v73, 0xfc, v73
	v_and_b32_e32 v74, 3, v99
	v_or_b32_e32 v85, v85, v99
	v_or3_b32 v98, v73, v98, v74
	v_cmp_ne_u32_e32 vcc_lo, 0, v85
	v_cndmask_b32_e32 v85, 0, v98, vcc_lo
.LBB0_226:                              ;   in Loop: Header=BB0_131 Depth=3
	s_or_b32 exec_lo, exec_lo, s25
.LBB0_227:                              ;   in Loop: Header=BB0_131 Depth=3
	s_or_b32 exec_lo, exec_lo, s24
	v_cmp_gt_i16_sdwa s24, v22, v40 src0_sel:BYTE_1 src1_sel:DWORD
	s_mov_b32 s11, 0
	s_and_saveexec_b32 s25, s24
	s_xor_b32 s24, exec_lo, s25
	s_cbranch_execnz .LBB0_313
; %bb.228:                              ;   in Loop: Header=BB0_131 Depth=3
	s_or_saveexec_b32 s24, s24
	v_mov_b32_e32 v98, 0x7f800001
	s_xor_b32 exec_lo, exec_lo, s24
	s_cbranch_execnz .LBB0_316
.LBB0_229:                              ;   in Loop: Header=BB0_131 Depth=3
	s_or_b32 exec_lo, exec_lo, s24
	s_and_saveexec_b32 s24, s11
	s_cbranch_execz .LBB0_231
.LBB0_230:                              ;   in Loop: Header=BB0_131 Depth=3
	v_and_b32_sdwa v98, v42, v22 dst_sel:DWORD dst_unused:UNUSED_PAD src0_sel:DWORD src1_sel:BYTE_1
	v_and_b32_e32 v99, 3, v98
	v_bfe_u32 v75, v98, 2, 5
	v_ffbh_u32_e32 v73, v99
	v_cmp_eq_u32_e32 vcc_lo, 0, v75
	v_min_u32_e32 v73, 32, v73
	v_subrev_nc_u32_e32 v74, 29, v73
	v_sub_nc_u32_e32 v73, 30, v73
	v_lshlrev_b32_e32 v98, v74, v98
	v_lshlrev_b32_sdwa v74, v43, v22 dst_sel:DWORD dst_unused:UNUSED_PAD src0_sel:DWORD src1_sel:BYTE_1
	v_cndmask_b32_e32 v73, v75, v73, vcc_lo
	v_and_b32_e32 v98, 3, v98
	v_lshl_add_u32 v73, v73, 23, 0x37800000
	v_cndmask_b32_e32 v98, v99, v98, vcc_lo
	v_and_b32_e32 v99, 0x80000000, v74
	v_lshlrev_b32_e32 v98, 21, v98
	v_or3_b32 v98, v99, v73, v98
.LBB0_231:                              ;   in Loop: Header=BB0_131 Depth=3
	s_or_b32 exec_lo, exec_lo, s24
	v_cmp_gt_i16_sdwa s24, v54, v40 src0_sel:BYTE_1 src1_sel:DWORD
	s_mov_b32 s11, 0
	s_and_saveexec_b32 s25, s24
	s_xor_b32 s24, exec_lo, s25
	s_cbranch_execnz .LBB0_317
; %bb.232:                              ;   in Loop: Header=BB0_131 Depth=3
	s_or_saveexec_b32 s24, s24
	v_mov_b32_e32 v99, 0x7f800001
	s_xor_b32 exec_lo, exec_lo, s24
	s_cbranch_execnz .LBB0_320
.LBB0_233:                              ;   in Loop: Header=BB0_131 Depth=3
	s_or_b32 exec_lo, exec_lo, s24
	s_and_saveexec_b32 s24, s11
	s_cbranch_execz .LBB0_235
.LBB0_234:                              ;   in Loop: Header=BB0_131 Depth=3
	v_and_b32_sdwa v99, v42, v54 dst_sel:DWORD dst_unused:UNUSED_PAD src0_sel:DWORD src1_sel:BYTE_1
	v_and_b32_e32 v73, 3, v99
	v_bfe_u32 v76, v99, 2, 5
	v_ffbh_u32_e32 v74, v73
	v_cmp_eq_u32_e32 vcc_lo, 0, v76
	v_min_u32_e32 v74, 32, v74
	v_subrev_nc_u32_e32 v75, 29, v74
	v_sub_nc_u32_e32 v74, 30, v74
	v_lshlrev_b32_e32 v99, v75, v99
	v_lshlrev_b32_sdwa v75, v43, v54 dst_sel:DWORD dst_unused:UNUSED_PAD src0_sel:DWORD src1_sel:BYTE_1
	v_cndmask_b32_e32 v74, v76, v74, vcc_lo
	v_and_b32_e32 v99, 3, v99
	v_lshl_add_u32 v74, v74, 23, 0x37800000
	v_cndmask_b32_e32 v99, v73, v99, vcc_lo
	v_and_b32_e32 v73, 0x80000000, v75
	v_lshlrev_b32_e32 v99, 21, v99
	v_or3_b32 v99, v73, v74, v99
.LBB0_235:                              ;   in Loop: Header=BB0_131 Depth=3
	s_or_b32 exec_lo, exec_lo, s24
	v_mul_f32_e32 v99, v98, v99
	v_and_b32_e32 v98, 0x7f800000, v99
	v_cmp_ne_u32_e32 vcc_lo, 0x7f800000, v98
	v_mov_b32_e32 v98, 0x8000
	s_and_saveexec_b32 s24, vcc_lo
	s_cbranch_execz .LBB0_243
; %bb.236:                              ;   in Loop: Header=BB0_131 Depth=3
	v_mov_b32_e32 v98, 0
	s_mov_b32 s25, exec_lo
	v_cmpx_ne_u32_e32 0, v99
	s_cbranch_execz .LBB0_242
; %bb.237:                              ;   in Loop: Header=BB0_131 Depth=3
	v_bfe_u32 v98, v99, 23, 8
	v_and_b32_e32 v73, 0x7fffff, v99
	v_sub_nc_u32_e32 v74, 0x70, v98
	v_cmp_gt_u32_e32 vcc_lo, 0x71, v98
	v_or_b32_e32 v75, 0x800000, v73
	v_cndmask_b32_e32 v74, 0, v74, vcc_lo
	v_cmp_eq_u32_e32 vcc_lo, 0, v98
	v_add_nc_u32_e32 v98, 0xffffff91, v98
	v_cndmask_b32_e64 v74, v74, 0x6f, vcc_lo
	v_cndmask_b32_e32 v73, v75, v73, vcc_lo
	v_cndmask_b32_e64 v98, v98, 0xffffff92, vcc_lo
	v_lshl_add_u32 v75, 0x200000, v74, -1
	v_lshrrev_b32_e32 v76, v74, v73
	v_lshlrev_b32_e64 v78, v74, 0x100000
	v_add_nc_u32_e32 v74, v74, v98
	v_and_b32_e32 v73, v75, v73
	v_bfe_u32 v77, v76, 21, 1
	v_cmp_eq_u32_e64 s11, v73, v78
	v_add_nc_u32_e32 v75, -1, v77
	v_cndmask_b32_e64 v73, 0, v75, s11
	v_lshrrev_b32_e32 v75, 23, v76
	s_mov_b32 s11, exec_lo
	v_add_nc_u32_e32 v73, v73, v76
	v_xor_b32_e32 v75, 1, v75
	v_and_b32_e32 v98, 0x1fffff, v73
	v_add_nc_u32_e32 v73, v98, v76
                                        ; implicit-def: $vgpr98
	v_cmpx_ne_u32_e64 v74, v75
	s_xor_b32 s11, exec_lo, s11
; %bb.238:                              ;   in Loop: Header=BB0_131 Depth=3
	v_cmp_lt_u32_e32 vcc_lo, 0xffffff, v73
	v_sub_nc_u32_e32 v98, v74, v75
	v_cndmask_b32_e64 v74, 0, 1, vcc_lo
	v_add_co_ci_u32_e64 v98, null, 0, v98, vcc_lo
	v_lshrrev_b32_e32 v73, v74, v73
; %bb.239:                              ;   in Loop: Header=BB0_131 Depth=3
	s_andn2_saveexec_b32 s11, s11
; %bb.240:                              ;   in Loop: Header=BB0_131 Depth=3
	v_bfe_u32 v98, v73, 23, 1
; %bb.241:                              ;   in Loop: Header=BB0_131 Depth=3
	s_or_b32 exec_lo, exec_lo, s11
	v_lshrrev_b32_e32 v73, 21, v73
	v_min_i32_e32 v74, 31, v98
	v_cmp_gt_i32_e32 vcc_lo, 32, v98
	v_and_b32_sdwa v99, v99, v41 dst_sel:DWORD dst_unused:UNUSED_PAD src0_sel:BYTE_3 src1_sel:DWORD
	v_lshlrev_b32_e32 v74, 2, v74
	v_cndmask_b32_e32 v73, 3, v73, vcc_lo
	v_and_b32_e32 v74, 0xfc, v74
	v_and_b32_e32 v75, 3, v73
	v_or_b32_e32 v98, v98, v73
	v_or3_b32 v99, v99, v74, v75
	v_cmp_ne_u32_e32 vcc_lo, 0, v98
	v_lshlrev_b32_e32 v99, 8, v99
	v_cndmask_b32_e32 v98, 0, v99, vcc_lo
.LBB0_242:                              ;   in Loop: Header=BB0_131 Depth=3
	s_or_b32 exec_lo, exec_lo, s25
.LBB0_243:                              ;   in Loop: Header=BB0_131 Depth=3
	s_or_b32 exec_lo, exec_lo, s24
	v_and_b32_sdwa v73, v22, v44 dst_sel:DWORD dst_unused:UNUSED_PAD src0_sel:WORD_1 src1_sel:DWORD
	s_mov_b32 s11, 0
	s_mov_b32 s24, exec_lo
	v_cmpx_lt_i16_e32 0x7f, v73
	s_xor_b32 s24, exec_lo, s24
	s_cbranch_execnz .LBB0_321
; %bb.244:                              ;   in Loop: Header=BB0_131 Depth=3
	s_or_saveexec_b32 s24, s24
	v_mov_b32_e32 v99, 0x7f800001
	s_xor_b32 exec_lo, exec_lo, s24
	s_cbranch_execnz .LBB0_324
.LBB0_245:                              ;   in Loop: Header=BB0_131 Depth=3
	s_or_b32 exec_lo, exec_lo, s24
	s_and_saveexec_b32 s24, s11
	s_cbranch_execz .LBB0_247
.LBB0_246:                              ;   in Loop: Header=BB0_131 Depth=3
	v_bfe_u32 v99, v22, 16, 2
	v_bfe_u32 v75, v22, 18, 5
	v_lshlrev_b32_e32 v76, 8, v22
	v_ffbh_u32_e32 v73, v99
	v_cmp_eq_u32_e32 vcc_lo, 0, v75
	v_min_u32_e32 v73, 32, v73
	v_subrev_nc_u32_e32 v74, 29, v73
	v_sub_nc_u32_e32 v73, 30, v73
	v_lshlrev_b32_sdwa v74, v74, v22 dst_sel:DWORD dst_unused:UNUSED_PAD src0_sel:DWORD src1_sel:WORD_1
	v_cndmask_b32_e32 v73, v75, v73, vcc_lo
	v_and_b32_e32 v74, 3, v74
	v_lshl_add_u32 v73, v73, 23, 0x37800000
	v_cndmask_b32_e32 v99, v99, v74, vcc_lo
	v_and_b32_e32 v74, 0x80000000, v76
	v_lshlrev_b32_e32 v99, 21, v99
	v_or3_b32 v99, v74, v73, v99
.LBB0_247:                              ;   in Loop: Header=BB0_131 Depth=3
	s_or_b32 exec_lo, exec_lo, s24
	v_and_b32_sdwa v74, v54, v44 dst_sel:DWORD dst_unused:UNUSED_PAD src0_sel:WORD_1 src1_sel:DWORD
	s_mov_b32 s11, 0
	s_mov_b32 s24, exec_lo
	v_cmpx_lt_i16_e32 0x7f, v74
	s_xor_b32 s24, exec_lo, s24
	s_cbranch_execnz .LBB0_325
; %bb.248:                              ;   in Loop: Header=BB0_131 Depth=3
	s_or_saveexec_b32 s24, s24
	v_mov_b32_e32 v73, 0x7f800001
	s_xor_b32 exec_lo, exec_lo, s24
	s_cbranch_execnz .LBB0_328
.LBB0_249:                              ;   in Loop: Header=BB0_131 Depth=3
	s_or_b32 exec_lo, exec_lo, s24
	s_and_saveexec_b32 s24, s11
	s_cbranch_execz .LBB0_251
.LBB0_250:                              ;   in Loop: Header=BB0_131 Depth=3
	v_bfe_u32 v73, v54, 16, 2
	v_bfe_u32 v76, v54, 18, 5
	v_lshlrev_b32_e32 v77, 8, v54
	v_ffbh_u32_e32 v74, v73
	v_cmp_eq_u32_e32 vcc_lo, 0, v76
	v_min_u32_e32 v74, 32, v74
	v_subrev_nc_u32_e32 v75, 29, v74
	v_sub_nc_u32_e32 v74, 30, v74
	v_lshlrev_b32_sdwa v75, v75, v54 dst_sel:DWORD dst_unused:UNUSED_PAD src0_sel:DWORD src1_sel:WORD_1
	v_cndmask_b32_e32 v74, v76, v74, vcc_lo
	v_and_b32_e32 v75, 3, v75
	v_lshl_add_u32 v74, v74, 23, 0x37800000
	v_cndmask_b32_e32 v73, v73, v75, vcc_lo
	v_and_b32_e32 v75, 0x80000000, v77
	v_lshlrev_b32_e32 v73, 21, v73
	v_or3_b32 v73, v75, v74, v73
.LBB0_251:                              ;   in Loop: Header=BB0_131 Depth=3
	s_or_b32 exec_lo, exec_lo, s24
	v_mul_f32_e32 v73, v99, v73
	v_and_b32_e32 v99, 0x7f800000, v73
	v_cmp_ne_u32_e32 vcc_lo, 0x7f800000, v99
	v_mov_b32_e32 v99, 0x80
	s_and_saveexec_b32 s24, vcc_lo
	s_cbranch_execz .LBB0_259
; %bb.252:                              ;   in Loop: Header=BB0_131 Depth=3
	v_mov_b32_e32 v99, 0
	s_mov_b32 s25, exec_lo
	v_cmpx_ne_u32_e32 0, v73
	s_cbranch_execz .LBB0_258
; %bb.253:                              ;   in Loop: Header=BB0_131 Depth=3
	v_bfe_u32 v99, v73, 23, 8
	v_and_b32_e32 v74, 0x7fffff, v73
	v_sub_nc_u32_e32 v75, 0x70, v99
	v_cmp_gt_u32_e32 vcc_lo, 0x71, v99
	v_or_b32_e32 v76, 0x800000, v74
	v_cndmask_b32_e32 v75, 0, v75, vcc_lo
	v_cmp_eq_u32_e32 vcc_lo, 0, v99
	v_add_nc_u32_e32 v99, 0xffffff91, v99
	v_cndmask_b32_e64 v75, v75, 0x6f, vcc_lo
	v_cndmask_b32_e32 v74, v76, v74, vcc_lo
	v_cndmask_b32_e64 v99, v99, 0xffffff92, vcc_lo
	v_lshl_add_u32 v76, 0x200000, v75, -1
	v_lshrrev_b32_e32 v77, v75, v74
	v_lshlrev_b32_e64 v79, v75, 0x100000
	v_add_nc_u32_e32 v75, v75, v99
	v_and_b32_e32 v74, v76, v74
	v_bfe_u32 v78, v77, 21, 1
	v_cmp_eq_u32_e64 s11, v74, v79
	v_add_nc_u32_e32 v76, -1, v78
	v_cndmask_b32_e64 v74, 0, v76, s11
	v_lshrrev_b32_e32 v76, 23, v77
	s_mov_b32 s11, exec_lo
	v_add_nc_u32_e32 v74, v74, v77
	v_xor_b32_e32 v76, 1, v76
	v_and_b32_e32 v99, 0x1fffff, v74
	v_add_nc_u32_e32 v74, v99, v77
                                        ; implicit-def: $vgpr99
	v_cmpx_ne_u32_e64 v75, v76
	s_xor_b32 s11, exec_lo, s11
; %bb.254:                              ;   in Loop: Header=BB0_131 Depth=3
	v_cmp_lt_u32_e32 vcc_lo, 0xffffff, v74
	v_sub_nc_u32_e32 v99, v75, v76
	v_cndmask_b32_e64 v75, 0, 1, vcc_lo
	v_add_co_ci_u32_e64 v99, null, 0, v99, vcc_lo
	v_lshrrev_b32_e32 v74, v75, v74
; %bb.255:                              ;   in Loop: Header=BB0_131 Depth=3
	s_andn2_saveexec_b32 s11, s11
; %bb.256:                              ;   in Loop: Header=BB0_131 Depth=3
	v_bfe_u32 v99, v74, 23, 1
; %bb.257:                              ;   in Loop: Header=BB0_131 Depth=3
	s_or_b32 exec_lo, exec_lo, s11
	v_lshrrev_b32_e32 v74, 21, v74
	v_min_i32_e32 v75, 31, v99
	v_cmp_gt_i32_e32 vcc_lo, 32, v99
	v_and_b32_sdwa v73, v73, v41 dst_sel:DWORD dst_unused:UNUSED_PAD src0_sel:BYTE_3 src1_sel:DWORD
	v_lshlrev_b32_e32 v75, 2, v75
	v_cndmask_b32_e32 v74, 3, v74, vcc_lo
	v_and_b32_e32 v75, 0xfc, v75
	v_and_b32_e32 v76, 3, v74
	v_or_b32_e32 v99, v99, v74
	v_or3_b32 v73, v75, v73, v76
	v_cmp_ne_u32_e32 vcc_lo, 0, v99
	v_cndmask_b32_e32 v99, 0, v73, vcc_lo
.LBB0_258:                              ;   in Loop: Header=BB0_131 Depth=3
	s_or_b32 exec_lo, exec_lo, s25
.LBB0_259:                              ;   in Loop: Header=BB0_131 Depth=3
	s_or_b32 exec_lo, exec_lo, s24
	v_cmp_gt_i16_sdwa s24, v22, v40 src0_sel:BYTE_3 src1_sel:DWORD
	s_mov_b32 s11, 0
	s_and_saveexec_b32 s25, s24
	s_xor_b32 s24, exec_lo, s25
	s_cbranch_execnz .LBB0_329
; %bb.260:                              ;   in Loop: Header=BB0_131 Depth=3
	s_or_saveexec_b32 s24, s24
	v_mov_b32_e32 v73, 0x7f800001
	s_xor_b32 exec_lo, exec_lo, s24
	s_cbranch_execnz .LBB0_332
.LBB0_261:                              ;   in Loop: Header=BB0_131 Depth=3
	s_or_b32 exec_lo, exec_lo, s24
	s_and_saveexec_b32 s24, s11
	s_cbranch_execz .LBB0_263
.LBB0_262:                              ;   in Loop: Header=BB0_131 Depth=3
	v_bfe_u32 v73, v22, 24, 2
	v_bfe_u32 v76, v22, 26, 5
	v_ffbh_u32_e32 v74, v73
	v_cmp_eq_u32_e32 vcc_lo, 0, v76
	v_min_u32_e32 v74, 32, v74
	v_subrev_nc_u32_e32 v75, 29, v74
	v_sub_nc_u32_e32 v74, 30, v74
	v_lshlrev_b32_sdwa v75, v75, v22 dst_sel:DWORD dst_unused:UNUSED_PAD src0_sel:DWORD src1_sel:BYTE_3
	v_cndmask_b32_e32 v74, v76, v74, vcc_lo
	v_and_b32_e32 v22, 0x80000000, v22
	v_and_b32_e32 v75, 3, v75
	v_lshl_add_u32 v74, v74, 23, 0x37800000
	v_cndmask_b32_e32 v73, v73, v75, vcc_lo
	v_lshlrev_b32_e32 v73, 21, v73
	v_or3_b32 v73, v22, v74, v73
.LBB0_263:                              ;   in Loop: Header=BB0_131 Depth=3
	s_or_b32 exec_lo, exec_lo, s24
	v_cmp_gt_i16_sdwa s24, v54, v40 src0_sel:BYTE_3 src1_sel:DWORD
	s_mov_b32 s11, 0
	s_and_saveexec_b32 s25, s24
	s_xor_b32 s24, exec_lo, s25
	s_cbranch_execnz .LBB0_333
; %bb.264:                              ;   in Loop: Header=BB0_131 Depth=3
	s_or_saveexec_b32 s24, s24
	v_mov_b32_e32 v22, 0x7f800001
	s_xor_b32 exec_lo, exec_lo, s24
	s_cbranch_execnz .LBB0_336
.LBB0_265:                              ;   in Loop: Header=BB0_131 Depth=3
	s_or_b32 exec_lo, exec_lo, s24
	s_and_saveexec_b32 s24, s11
	s_cbranch_execz .LBB0_267
.LBB0_266:                              ;   in Loop: Header=BB0_131 Depth=3
	v_bfe_u32 v22, v54, 24, 2
	v_bfe_u32 v76, v54, 26, 5
	v_ffbh_u32_e32 v74, v22
	v_cmp_eq_u32_e32 vcc_lo, 0, v76
	v_min_u32_e32 v74, 32, v74
	v_subrev_nc_u32_e32 v75, 29, v74
	v_sub_nc_u32_e32 v74, 30, v74
	v_lshlrev_b32_sdwa v75, v75, v54 dst_sel:DWORD dst_unused:UNUSED_PAD src0_sel:DWORD src1_sel:BYTE_3
	v_cndmask_b32_e32 v74, v76, v74, vcc_lo
	v_and_b32_e32 v54, 0x80000000, v54
	v_and_b32_e32 v75, 3, v75
	v_lshl_add_u32 v74, v74, 23, 0x37800000
	v_cndmask_b32_e32 v22, v22, v75, vcc_lo
	v_lshlrev_b32_e32 v22, 21, v22
	v_or3_b32 v22, v54, v74, v22
.LBB0_267:                              ;   in Loop: Header=BB0_131 Depth=3
	s_or_b32 exec_lo, exec_lo, s24
	v_mul_f32_e32 v22, v73, v22
	v_and_b32_e32 v54, 0x7f800000, v22
	v_cmp_ne_u32_e32 vcc_lo, 0x7f800000, v54
	v_mov_b32_e32 v54, 0x8000
	s_and_saveexec_b32 s24, vcc_lo
	s_cbranch_execz .LBB0_130
; %bb.268:                              ;   in Loop: Header=BB0_131 Depth=3
	v_mov_b32_e32 v54, 0
	s_mov_b32 s25, exec_lo
	v_cmpx_ne_u32_e32 0, v22
	s_cbranch_execz .LBB0_129
; %bb.269:                              ;   in Loop: Header=BB0_131 Depth=3
	v_bfe_u32 v54, v22, 23, 8
	v_and_b32_e32 v73, 0x7fffff, v22
	v_sub_nc_u32_e32 v74, 0x70, v54
	v_cmp_gt_u32_e32 vcc_lo, 0x71, v54
	v_or_b32_e32 v75, 0x800000, v73
	v_cndmask_b32_e32 v74, 0, v74, vcc_lo
	v_cmp_eq_u32_e32 vcc_lo, 0, v54
	v_add_nc_u32_e32 v54, 0xffffff91, v54
	v_cndmask_b32_e64 v74, v74, 0x6f, vcc_lo
	v_cndmask_b32_e32 v73, v75, v73, vcc_lo
	v_cndmask_b32_e64 v54, v54, 0xffffff92, vcc_lo
	v_lshl_add_u32 v75, 0x200000, v74, -1
	v_lshrrev_b32_e32 v76, v74, v73
	v_lshlrev_b32_e64 v78, v74, 0x100000
	v_add_nc_u32_e32 v74, v74, v54
	v_and_b32_e32 v73, v75, v73
	v_bfe_u32 v77, v76, 21, 1
	v_cmp_eq_u32_e64 s11, v73, v78
	v_add_nc_u32_e32 v75, -1, v77
	v_cndmask_b32_e64 v73, 0, v75, s11
	v_lshrrev_b32_e32 v75, 23, v76
	s_mov_b32 s11, exec_lo
	v_add_nc_u32_e32 v73, v73, v76
	v_xor_b32_e32 v75, 1, v75
	v_and_b32_e32 v54, 0x1fffff, v73
	v_add_nc_u32_e32 v73, v54, v76
                                        ; implicit-def: $vgpr54
	v_cmpx_ne_u32_e64 v74, v75
	s_xor_b32 s11, exec_lo, s11
; %bb.270:                              ;   in Loop: Header=BB0_131 Depth=3
	v_cmp_lt_u32_e32 vcc_lo, 0xffffff, v73
	v_sub_nc_u32_e32 v54, v74, v75
	v_cndmask_b32_e64 v74, 0, 1, vcc_lo
	v_add_co_ci_u32_e64 v54, null, 0, v54, vcc_lo
	v_lshrrev_b32_e32 v73, v74, v73
; %bb.271:                              ;   in Loop: Header=BB0_131 Depth=3
	s_andn2_saveexec_b32 s11, s11
	s_cbranch_execz .LBB0_128
; %bb.272:                              ;   in Loop: Header=BB0_131 Depth=3
	v_bfe_u32 v54, v73, 23, 1
	s_branch .LBB0_128
.LBB0_273:                              ;   in Loop: Header=BB0_131 Depth=3
	v_cmp_eq_u16_sdwa s26, v20, v41 src0_sel:BYTE_0 src1_sel:DWORD
	s_mov_b32 s11, -1
	s_and_saveexec_b32 s25, s26
; %bb.274:                              ;   in Loop: Header=BB0_131 Depth=3
	s_xor_b32 s11, exec_lo, -1
; %bb.275:                              ;   in Loop: Header=BB0_131 Depth=3
	s_or_b32 exec_lo, exec_lo, s25
	s_and_b32 s11, s11, exec_lo
	s_or_saveexec_b32 s24, s24
	v_mov_b32_e32 v21, 0x7f800001
	s_xor_b32 exec_lo, exec_lo, s24
	s_cbranch_execz .LBB0_149
.LBB0_276:                              ;   in Loop: Header=BB0_131 Depth=3
	v_cmp_ne_u16_sdwa s25, v20, v55 src0_sel:BYTE_0 src1_sel:DWORD
	v_mov_b32_e32 v21, 0
	s_andn2_b32 s11, s11, exec_lo
	s_and_b32 s25, s25, exec_lo
	s_or_b32 s11, s11, s25
	s_or_b32 exec_lo, exec_lo, s24
	s_and_saveexec_b32 s24, s11
	s_cbranch_execnz .LBB0_150
	s_branch .LBB0_151
.LBB0_277:                              ;   in Loop: Header=BB0_131 Depth=3
	v_cmp_eq_u16_sdwa s26, v85, v41 src0_sel:BYTE_0 src1_sel:DWORD
	s_mov_b32 s11, -1
	s_and_saveexec_b32 s25, s26
; %bb.278:                              ;   in Loop: Header=BB0_131 Depth=3
	s_xor_b32 s11, exec_lo, -1
; %bb.279:                              ;   in Loop: Header=BB0_131 Depth=3
	s_or_b32 exec_lo, exec_lo, s25
	s_and_b32 s11, s11, exec_lo
	s_or_saveexec_b32 s24, s24
	v_mov_b32_e32 v18, 0x7f800001
	s_xor_b32 exec_lo, exec_lo, s24
	s_cbranch_execz .LBB0_153
.LBB0_280:                              ;   in Loop: Header=BB0_131 Depth=3
	v_cmp_ne_u16_sdwa s25, v85, v55 src0_sel:BYTE_0 src1_sel:DWORD
	v_mov_b32_e32 v18, 0
	s_andn2_b32 s11, s11, exec_lo
	s_and_b32 s25, s25, exec_lo
	s_or_b32 s11, s11, s25
	s_or_b32 exec_lo, exec_lo, s24
	s_and_saveexec_b32 s24, s11
	s_cbranch_execnz .LBB0_154
	s_branch .LBB0_155
.LBB0_281:                              ;   in Loop: Header=BB0_131 Depth=3
	v_cmp_eq_u16_sdwa s26, v20, v41 src0_sel:BYTE_1 src1_sel:DWORD
	s_mov_b32 s11, -1
	s_and_saveexec_b32 s25, s26
; %bb.282:                              ;   in Loop: Header=BB0_131 Depth=3
	s_xor_b32 s11, exec_lo, -1
; %bb.283:                              ;   in Loop: Header=BB0_131 Depth=3
	s_or_b32 exec_lo, exec_lo, s25
	s_and_b32 s11, s11, exec_lo
	s_or_saveexec_b32 s24, s24
	v_mov_b32_e32 v21, 0x7f800001
	s_xor_b32 exec_lo, exec_lo, s24
	s_cbranch_execz .LBB0_165
.LBB0_284:                              ;   in Loop: Header=BB0_131 Depth=3
	v_cmp_ne_u16_sdwa s25, v20, v55 src0_sel:BYTE_1 src1_sel:DWORD
	v_mov_b32_e32 v21, 0
	s_andn2_b32 s11, s11, exec_lo
	s_and_b32 s25, s25, exec_lo
	s_or_b32 s11, s11, s25
	s_or_b32 exec_lo, exec_lo, s24
	s_and_saveexec_b32 s24, s11
	s_cbranch_execnz .LBB0_166
	s_branch .LBB0_167
.LBB0_285:                              ;   in Loop: Header=BB0_131 Depth=3
	v_cmp_eq_u16_sdwa s26, v85, v41 src0_sel:BYTE_1 src1_sel:DWORD
	s_mov_b32 s11, -1
	s_and_saveexec_b32 s25, s26
; %bb.286:                              ;   in Loop: Header=BB0_131 Depth=3
	s_xor_b32 s11, exec_lo, -1
; %bb.287:                              ;   in Loop: Header=BB0_131 Depth=3
	s_or_b32 exec_lo, exec_lo, s25
	s_and_b32 s11, s11, exec_lo
	s_or_saveexec_b32 s24, s24
	v_mov_b32_e32 v23, 0x7f800001
	s_xor_b32 exec_lo, exec_lo, s24
	s_cbranch_execz .LBB0_169
.LBB0_288:                              ;   in Loop: Header=BB0_131 Depth=3
	v_cmp_ne_u16_sdwa s25, v85, v55 src0_sel:BYTE_1 src1_sel:DWORD
	v_mov_b32_e32 v23, 0
	s_andn2_b32 s11, s11, exec_lo
	s_and_b32 s25, s25, exec_lo
	s_or_b32 s11, s11, s25
	s_or_b32 exec_lo, exec_lo, s24
	s_and_saveexec_b32 s24, s11
	s_cbranch_execnz .LBB0_170
	s_branch .LBB0_171
.LBB0_289:                              ;   in Loop: Header=BB0_131 Depth=3
	s_mov_b32 s11, -1
	s_mov_b32 s25, exec_lo
	v_cmpx_eq_u16_e32 0x80, v98
; %bb.290:                              ;   in Loop: Header=BB0_131 Depth=3
	s_xor_b32 s11, exec_lo, -1
; %bb.291:                              ;   in Loop: Header=BB0_131 Depth=3
	s_or_b32 exec_lo, exec_lo, s25
	s_and_b32 s11, s11, exec_lo
                                        ; implicit-def: $vgpr98
	s_or_saveexec_b32 s24, s24
	v_mov_b32_e32 v23, 0x7f800001
	s_xor_b32 exec_lo, exec_lo, s24
	s_cbranch_execz .LBB0_181
.LBB0_292:                              ;   in Loop: Header=BB0_131 Depth=3
	v_cmp_ne_u16_e32 vcc_lo, 0, v98
	v_mov_b32_e32 v23, 0
	s_andn2_b32 s11, s11, exec_lo
	s_and_b32 s25, vcc_lo, exec_lo
	s_or_b32 s11, s11, s25
	s_or_b32 exec_lo, exec_lo, s24
	s_and_saveexec_b32 s24, s11
	s_cbranch_execnz .LBB0_182
	s_branch .LBB0_183
.LBB0_293:                              ;   in Loop: Header=BB0_131 Depth=3
	s_mov_b32 s11, -1
	s_mov_b32 s25, exec_lo
	v_cmpx_eq_u16_e32 0x80, v99
; %bb.294:                              ;   in Loop: Header=BB0_131 Depth=3
	s_xor_b32 s11, exec_lo, -1
; %bb.295:                              ;   in Loop: Header=BB0_131 Depth=3
	s_or_b32 exec_lo, exec_lo, s25
	s_and_b32 s11, s11, exec_lo
                                        ; implicit-def: $vgpr99
	s_or_saveexec_b32 s24, s24
	v_mov_b32_e32 v98, 0x7f800001
	s_xor_b32 exec_lo, exec_lo, s24
	s_cbranch_execz .LBB0_185
.LBB0_296:                              ;   in Loop: Header=BB0_131 Depth=3
	v_cmp_ne_u16_e32 vcc_lo, 0, v99
	v_mov_b32_e32 v98, 0
	s_andn2_b32 s11, s11, exec_lo
	s_and_b32 s25, vcc_lo, exec_lo
	s_or_b32 s11, s11, s25
	s_or_b32 exec_lo, exec_lo, s24
	s_and_saveexec_b32 s24, s11
	s_cbranch_execnz .LBB0_186
	s_branch .LBB0_187
.LBB0_297:                              ;   in Loop: Header=BB0_131 Depth=3
	v_cmp_eq_u16_sdwa s26, v20, v41 src0_sel:BYTE_3 src1_sel:DWORD
	s_mov_b32 s11, -1
	s_and_saveexec_b32 s25, s26
; %bb.298:                              ;   in Loop: Header=BB0_131 Depth=3
	s_xor_b32 s11, exec_lo, -1
; %bb.299:                              ;   in Loop: Header=BB0_131 Depth=3
	s_or_b32 exec_lo, exec_lo, s25
	s_and_b32 s11, s11, exec_lo
	s_or_saveexec_b32 s24, s24
	v_mov_b32_e32 v98, 0x7f800001
	s_xor_b32 exec_lo, exec_lo, s24
	s_cbranch_execz .LBB0_197
.LBB0_300:                              ;   in Loop: Header=BB0_131 Depth=3
	v_cmp_ne_u16_sdwa s25, v20, v55 src0_sel:BYTE_3 src1_sel:DWORD
	v_mov_b32_e32 v98, 0
	s_andn2_b32 s11, s11, exec_lo
	s_and_b32 s25, s25, exec_lo
	s_or_b32 s11, s11, s25
	s_or_b32 exec_lo, exec_lo, s24
	s_and_saveexec_b32 s24, s11
	s_cbranch_execnz .LBB0_198
	s_branch .LBB0_199
.LBB0_301:                              ;   in Loop: Header=BB0_131 Depth=3
	v_cmp_eq_u16_sdwa s26, v85, v41 src0_sel:BYTE_3 src1_sel:DWORD
	s_mov_b32 s11, -1
	s_and_saveexec_b32 s25, s26
; %bb.302:                              ;   in Loop: Header=BB0_131 Depth=3
	s_xor_b32 s11, exec_lo, -1
; %bb.303:                              ;   in Loop: Header=BB0_131 Depth=3
	s_or_b32 exec_lo, exec_lo, s25
	s_and_b32 s11, s11, exec_lo
	s_or_saveexec_b32 s24, s24
	v_mov_b32_e32 v20, 0x7f800001
	s_xor_b32 exec_lo, exec_lo, s24
	s_cbranch_execz .LBB0_201
.LBB0_304:                              ;   in Loop: Header=BB0_131 Depth=3
	v_cmp_ne_u16_sdwa s25, v85, v55 src0_sel:BYTE_3 src1_sel:DWORD
	v_mov_b32_e32 v20, 0
	s_andn2_b32 s11, s11, exec_lo
	s_and_b32 s25, s25, exec_lo
	s_or_b32 s11, s11, s25
	s_or_b32 exec_lo, exec_lo, s24
	s_and_saveexec_b32 s24, s11
	s_cbranch_execnz .LBB0_202
	s_branch .LBB0_203
.LBB0_305:                              ;   in Loop: Header=BB0_131 Depth=3
	v_cmp_eq_u16_sdwa s26, v22, v41 src0_sel:BYTE_0 src1_sel:DWORD
	s_mov_b32 s11, -1
	s_and_saveexec_b32 s25, s26
; %bb.306:                              ;   in Loop: Header=BB0_131 Depth=3
	s_xor_b32 s11, exec_lo, -1
; %bb.307:                              ;   in Loop: Header=BB0_131 Depth=3
	s_or_b32 exec_lo, exec_lo, s25
	s_and_b32 s11, s11, exec_lo
	s_or_saveexec_b32 s24, s24
	v_mov_b32_e32 v85, 0x7f800001
	s_xor_b32 exec_lo, exec_lo, s24
	s_cbranch_execz .LBB0_213
.LBB0_308:                              ;   in Loop: Header=BB0_131 Depth=3
	v_cmp_ne_u16_sdwa s25, v22, v55 src0_sel:BYTE_0 src1_sel:DWORD
	v_mov_b32_e32 v85, 0
	s_andn2_b32 s11, s11, exec_lo
	s_and_b32 s25, s25, exec_lo
	s_or_b32 s11, s11, s25
	s_or_b32 exec_lo, exec_lo, s24
	s_and_saveexec_b32 s24, s11
	s_cbranch_execnz .LBB0_214
	s_branch .LBB0_215
.LBB0_309:                              ;   in Loop: Header=BB0_131 Depth=3
	v_cmp_eq_u16_sdwa s26, v54, v41 src0_sel:BYTE_0 src1_sel:DWORD
	s_mov_b32 s11, -1
	s_and_saveexec_b32 s25, s26
; %bb.310:                              ;   in Loop: Header=BB0_131 Depth=3
	s_xor_b32 s11, exec_lo, -1
; %bb.311:                              ;   in Loop: Header=BB0_131 Depth=3
	s_or_b32 exec_lo, exec_lo, s25
	s_and_b32 s11, s11, exec_lo
	s_or_saveexec_b32 s24, s24
	v_mov_b32_e32 v98, 0x7f800001
	s_xor_b32 exec_lo, exec_lo, s24
	s_cbranch_execz .LBB0_217
.LBB0_312:                              ;   in Loop: Header=BB0_131 Depth=3
	v_cmp_ne_u16_sdwa s25, v54, v55 src0_sel:BYTE_0 src1_sel:DWORD
	v_mov_b32_e32 v98, 0
	s_andn2_b32 s11, s11, exec_lo
	s_and_b32 s25, s25, exec_lo
	s_or_b32 s11, s11, s25
	s_or_b32 exec_lo, exec_lo, s24
	s_and_saveexec_b32 s24, s11
	s_cbranch_execnz .LBB0_218
	s_branch .LBB0_219
.LBB0_313:                              ;   in Loop: Header=BB0_131 Depth=3
	v_cmp_eq_u16_sdwa s26, v22, v41 src0_sel:BYTE_1 src1_sel:DWORD
	s_mov_b32 s11, -1
	s_and_saveexec_b32 s25, s26
; %bb.314:                              ;   in Loop: Header=BB0_131 Depth=3
	s_xor_b32 s11, exec_lo, -1
; %bb.315:                              ;   in Loop: Header=BB0_131 Depth=3
	s_or_b32 exec_lo, exec_lo, s25
	s_and_b32 s11, s11, exec_lo
	s_or_saveexec_b32 s24, s24
	v_mov_b32_e32 v98, 0x7f800001
	s_xor_b32 exec_lo, exec_lo, s24
	s_cbranch_execz .LBB0_229
.LBB0_316:                              ;   in Loop: Header=BB0_131 Depth=3
	v_cmp_ne_u16_sdwa s25, v22, v55 src0_sel:BYTE_1 src1_sel:DWORD
	v_mov_b32_e32 v98, 0
	s_andn2_b32 s11, s11, exec_lo
	s_and_b32 s25, s25, exec_lo
	s_or_b32 s11, s11, s25
	s_or_b32 exec_lo, exec_lo, s24
	s_and_saveexec_b32 s24, s11
	s_cbranch_execnz .LBB0_230
	s_branch .LBB0_231
.LBB0_317:                              ;   in Loop: Header=BB0_131 Depth=3
	v_cmp_eq_u16_sdwa s26, v54, v41 src0_sel:BYTE_1 src1_sel:DWORD
	s_mov_b32 s11, -1
	s_and_saveexec_b32 s25, s26
; %bb.318:                              ;   in Loop: Header=BB0_131 Depth=3
	s_xor_b32 s11, exec_lo, -1
; %bb.319:                              ;   in Loop: Header=BB0_131 Depth=3
	s_or_b32 exec_lo, exec_lo, s25
	s_and_b32 s11, s11, exec_lo
	s_or_saveexec_b32 s24, s24
	v_mov_b32_e32 v99, 0x7f800001
	s_xor_b32 exec_lo, exec_lo, s24
	s_cbranch_execz .LBB0_233
.LBB0_320:                              ;   in Loop: Header=BB0_131 Depth=3
	v_cmp_ne_u16_sdwa s25, v54, v55 src0_sel:BYTE_1 src1_sel:DWORD
	v_mov_b32_e32 v99, 0
	s_andn2_b32 s11, s11, exec_lo
	s_and_b32 s25, s25, exec_lo
	s_or_b32 s11, s11, s25
	s_or_b32 exec_lo, exec_lo, s24
	s_and_saveexec_b32 s24, s11
	s_cbranch_execnz .LBB0_234
	s_branch .LBB0_235
.LBB0_321:                              ;   in Loop: Header=BB0_131 Depth=3
	s_mov_b32 s11, -1
	s_mov_b32 s25, exec_lo
	v_cmpx_eq_u16_e32 0x80, v73
; %bb.322:                              ;   in Loop: Header=BB0_131 Depth=3
	s_xor_b32 s11, exec_lo, -1
; %bb.323:                              ;   in Loop: Header=BB0_131 Depth=3
	s_or_b32 exec_lo, exec_lo, s25
	s_and_b32 s11, s11, exec_lo
                                        ; implicit-def: $vgpr73
	s_or_saveexec_b32 s24, s24
	v_mov_b32_e32 v99, 0x7f800001
	s_xor_b32 exec_lo, exec_lo, s24
	s_cbranch_execz .LBB0_245
.LBB0_324:                              ;   in Loop: Header=BB0_131 Depth=3
	v_cmp_ne_u16_e32 vcc_lo, 0, v73
	v_mov_b32_e32 v99, 0
	s_andn2_b32 s11, s11, exec_lo
	s_and_b32 s25, vcc_lo, exec_lo
	s_or_b32 s11, s11, s25
	s_or_b32 exec_lo, exec_lo, s24
	s_and_saveexec_b32 s24, s11
	s_cbranch_execnz .LBB0_246
	s_branch .LBB0_247
.LBB0_325:                              ;   in Loop: Header=BB0_131 Depth=3
	s_mov_b32 s11, -1
	s_mov_b32 s25, exec_lo
	v_cmpx_eq_u16_e32 0x80, v74
; %bb.326:                              ;   in Loop: Header=BB0_131 Depth=3
	s_xor_b32 s11, exec_lo, -1
; %bb.327:                              ;   in Loop: Header=BB0_131 Depth=3
	s_or_b32 exec_lo, exec_lo, s25
	s_and_b32 s11, s11, exec_lo
                                        ; implicit-def: $vgpr74
	s_or_saveexec_b32 s24, s24
	v_mov_b32_e32 v73, 0x7f800001
	s_xor_b32 exec_lo, exec_lo, s24
	s_cbranch_execz .LBB0_249
.LBB0_328:                              ;   in Loop: Header=BB0_131 Depth=3
	v_cmp_ne_u16_e32 vcc_lo, 0, v74
	v_mov_b32_e32 v73, 0
	s_andn2_b32 s11, s11, exec_lo
	s_and_b32 s25, vcc_lo, exec_lo
	s_or_b32 s11, s11, s25
	s_or_b32 exec_lo, exec_lo, s24
	s_and_saveexec_b32 s24, s11
	s_cbranch_execnz .LBB0_250
	s_branch .LBB0_251
.LBB0_329:                              ;   in Loop: Header=BB0_131 Depth=3
	v_cmp_eq_u16_sdwa s26, v22, v41 src0_sel:BYTE_3 src1_sel:DWORD
	s_mov_b32 s11, -1
	s_and_saveexec_b32 s25, s26
; %bb.330:                              ;   in Loop: Header=BB0_131 Depth=3
	s_xor_b32 s11, exec_lo, -1
; %bb.331:                              ;   in Loop: Header=BB0_131 Depth=3
	s_or_b32 exec_lo, exec_lo, s25
	s_and_b32 s11, s11, exec_lo
	s_or_saveexec_b32 s24, s24
	v_mov_b32_e32 v73, 0x7f800001
	s_xor_b32 exec_lo, exec_lo, s24
	s_cbranch_execz .LBB0_261
.LBB0_332:                              ;   in Loop: Header=BB0_131 Depth=3
	v_cmp_ne_u16_sdwa s25, v22, v55 src0_sel:BYTE_3 src1_sel:DWORD
	v_mov_b32_e32 v73, 0
	s_andn2_b32 s11, s11, exec_lo
	s_and_b32 s25, s25, exec_lo
	s_or_b32 s11, s11, s25
	s_or_b32 exec_lo, exec_lo, s24
	s_and_saveexec_b32 s24, s11
	s_cbranch_execnz .LBB0_262
	s_branch .LBB0_263
.LBB0_333:                              ;   in Loop: Header=BB0_131 Depth=3
	v_cmp_eq_u16_sdwa s26, v54, v41 src0_sel:BYTE_3 src1_sel:DWORD
	s_mov_b32 s11, -1
	s_and_saveexec_b32 s25, s26
; %bb.334:                              ;   in Loop: Header=BB0_131 Depth=3
	s_xor_b32 s11, exec_lo, -1
; %bb.335:                              ;   in Loop: Header=BB0_131 Depth=3
	s_or_b32 exec_lo, exec_lo, s25
	s_and_b32 s11, s11, exec_lo
	s_or_saveexec_b32 s24, s24
	v_mov_b32_e32 v22, 0x7f800001
	s_xor_b32 exec_lo, exec_lo, s24
	s_cbranch_execz .LBB0_265
.LBB0_336:                              ;   in Loop: Header=BB0_131 Depth=3
	v_cmp_ne_u16_sdwa s25, v54, v55 src0_sel:BYTE_3 src1_sel:DWORD
	v_mov_b32_e32 v22, 0
	s_andn2_b32 s11, s11, exec_lo
	s_and_b32 s25, s25, exec_lo
	s_or_b32 s11, s11, s25
	s_or_b32 exec_lo, exec_lo, s24
	s_and_saveexec_b32 s24, s11
	s_cbranch_execnz .LBB0_266
	s_branch .LBB0_267
.LBB0_337:                              ;   in Loop: Header=BB0_85 Depth=2
	s_or_b32 exec_lo, exec_lo, s23
	s_or_b32 exec_lo, exec_lo, s12
	s_and_saveexec_b32 s11, s7
	s_cbranch_execz .LBB0_122
.LBB0_338:                              ;   in Loop: Header=BB0_85 Depth=2
	s_and_saveexec_b32 s12, s19
	s_xor_b32 s12, exec_lo, s12
	s_cbranch_execz .LBB0_353
; %bb.339:                              ;   in Loop: Header=BB0_85 Depth=2
	s_and_saveexec_b32 s23, s8
	s_cbranch_execz .LBB0_352
; %bb.340:                              ;   in Loop: Header=BB0_85 Depth=2
	s_mov_b32 s25, exec_lo
	s_mov_b32 s24, exec_lo
	v_mbcnt_lo_u32_b32 v18, s25, 0
	s_waitcnt vmcnt(0) lgkmcnt(0)
	s_waitcnt_vscnt null, 0x0
	buffer_gl1_inv
	buffer_gl0_inv
	v_cmpx_eq_u32_e32 0, v18
	s_cbranch_execz .LBB0_342
; %bb.341:                              ;   in Loop: Header=BB0_85 Depth=2
	s_bcnt1_i32_b32 s25, s25
	v_mov_b32_e32 v54, s25
	ds_add_u64 v0, v[54:55]
	s_trap 2
.LBB0_342:                              ;   in Loop: Header=BB0_85 Depth=2
	s_or_b32 exec_lo, exec_lo, s24
	s_trap 2
	ds_read_b64 v[20:21], v0
	s_waitcnt lgkmcnt(0)
	buffer_gl0_inv
	v_add_co_u32 v2, vcc_lo, v2, v102
	v_add_co_ci_u32_e64 v3, null, 0, v3, vcc_lo
	s_mov_b32 s24, exec_lo
	v_cmpx_lt_u64_e64 v[20:21], v[2:3]
	s_cbranch_execz .LBB0_351
; %bb.343:                              ;   in Loop: Header=BB0_85 Depth=2
	s_mov_b32 s25, 0
	s_mov_b32 s28, 0
                                        ; implicit-def: $sgpr26
                                        ; implicit-def: $sgpr27
	s_inst_prefetch 0x1
	s_branch .LBB0_345
	.p2align	6
.LBB0_344:                              ;   in Loop: Header=BB0_345 Depth=3
	s_or_b32 exec_lo, exec_lo, s40
	s_and_b32 s29, exec_lo, s41
	s_or_b32 s25, s29, s25
	s_andn2_b32 s26, s26, exec_lo
	s_and_b32 s29, s27, exec_lo
	s_or_b32 s26, s26, s29
	s_andn2_b32 exec_lo, exec_lo, s25
	s_cbranch_execz .LBB0_349
.LBB0_345:                              ;   Parent Loop BB0_36 Depth=1
                                        ;     Parent Loop BB0_85 Depth=2
                                        ; =>    This Inner Loop Header: Depth=3
	s_add_i32 s28, s28, 1
	s_cmpk_lg_i32 s28, 0x2710
	s_cselect_b32 s29, -1, 0
	s_and_b32 vcc_lo, exec_lo, s29
	s_cbranch_vccz .LBB0_347
; %bb.346:                              ;   in Loop: Header=BB0_345 Depth=3
	s_mov_b32 s41, -1
	s_or_b32 s27, s27, exec_lo
	s_and_saveexec_b32 s40, s29
	s_cbranch_execz .LBB0_344
	s_branch .LBB0_348
	.p2align	6
.LBB0_347:                              ;   in Loop: Header=BB0_345 Depth=3
	s_trap 2
	ds_read_b64 v[20:21], v0
	s_andn2_b32 s29, s29, exec_lo
	s_mov_b32 s28, 0
	s_waitcnt lgkmcnt(0)
	flat_load_dword v18, v[20:21] glc dlc
	s_waitcnt vmcnt(0) lgkmcnt(0)
	buffer_gl1_inv
	buffer_gl0_inv
	v_cmp_eq_u32_e32 vcc_lo, 0, v18
	s_and_b32 s40, vcc_lo, exec_lo
	s_or_b32 s29, s29, s40
	s_mov_b32 s41, -1
	s_or_b32 s27, s27, exec_lo
	s_and_saveexec_b32 s40, s29
	s_cbranch_execz .LBB0_344
.LBB0_348:                              ;   in Loop: Header=BB0_345 Depth=3
	s_sleep 1
	s_trap 2
	ds_read_b64 v[20:21], v0
	s_waitcnt lgkmcnt(0)
	buffer_gl0_inv
	s_andn2_b32 s27, s27, exec_lo
	v_cmp_ge_u64_e32 vcc_lo, v[20:21], v[2:3]
	s_orn2_b32 s41, vcc_lo, exec_lo
	s_branch .LBB0_344
.LBB0_349:                              ;   in Loop: Header=BB0_85 Depth=2
	s_inst_prefetch 0x2
	s_or_b32 exec_lo, exec_lo, s25
	s_and_saveexec_b32 s25, s26
	s_xor_b32 s25, exec_lo, s25
	s_cbranch_execz .LBB0_351
; %bb.350:                              ;   in Loop: Header=BB0_85 Depth=2
	ds_write_b32 v0, v119
	s_trap 2
.LBB0_351:                              ;   in Loop: Header=BB0_85 Depth=2
	s_or_b32 exec_lo, exec_lo, s24
	;;#ASMSTART
	s_wakeup
	;;#ASMEND
.LBB0_352:                              ;   in Loop: Header=BB0_85 Depth=2
	s_or_b32 exec_lo, exec_lo, s23
.LBB0_353:                              ;   in Loop: Header=BB0_85 Depth=2
	s_andn2_saveexec_b32 s12, s12
	s_cbranch_execz .LBB0_355
; %bb.354:                              ;   in Loop: Header=BB0_85 Depth=2
	s_waitcnt vmcnt(0) lgkmcnt(0)
	s_waitcnt_vscnt null, 0x0
	buffer_gl1_inv
	buffer_gl0_inv
	s_barrier
.LBB0_355:                              ;   in Loop: Header=BB0_85 Depth=2
	s_or_b32 exec_lo, exec_lo, s12
	s_or_b32 exec_lo, exec_lo, s11
	s_and_saveexec_b32 s11, s9
	s_cbranch_execnz .LBB0_123
	s_branch .LBB0_124
.LBB0_356:                              ;   in Loop: Header=BB0_36 Depth=1
	v_mov_b32_e32 v22, v80
	v_mov_b32_e32 v23, v81
	s_and_saveexec_b32 s11, s10
	s_cbranch_execnz .LBB0_359
; %bb.357:                              ;   in Loop: Header=BB0_36 Depth=1
	s_or_b32 exec_lo, exec_lo, s11
	s_and_saveexec_b32 s10, s7
	s_cbranch_execnz .LBB0_588
.LBB0_358:                              ;   in Loop: Header=BB0_36 Depth=1
	s_or_b32 exec_lo, exec_lo, s10
	s_and_saveexec_b32 s10, s9
	s_cbranch_execz .LBB0_35
	s_branch .LBB0_606
.LBB0_359:                              ;   in Loop: Header=BB0_36 Depth=1
	flat_load_dword v54, v[24:25]
	v_and_b32_e32 v18, 7, v36
	s_waitcnt vmcnt(1) lgkmcnt(1)
	v_add_co_u32 v20, vcc_lo, v12, v56
	v_add_co_ci_u32_e64 v21, null, v13, v57, vcc_lo
	v_mul_lo_u32 v18, v18, s18
	v_add_nc_u32_e32 v85, 1, v36
	s_mov_b32 s12, 0
	v_ashrrev_i32_e32 v19, 31, v18
	v_lshlrev_b64 v[18:19], 4, v[18:19]
	s_waitcnt vmcnt(0) lgkmcnt(0)
	v_ashrrev_i32_e32 v80, 31, v54
	v_mul_lo_u32 v82, v100, v54
	v_mad_u64_u32 v[20:21], null, v30, v54, v[20:21]
	v_mul_lo_u32 v54, v30, v80
	v_add_co_u32 v80, vcc_lo, v115, v56
	v_add_co_ci_u32_e64 v81, null, v116, v57, vcc_lo
	v_add_co_u32 v86, vcc_lo, v34, v18
	v_add_co_ci_u32_e64 v87, null, v35, v19, vcc_lo
	v_add3_u32 v21, v82, v21, v54
	v_add_co_u32 v96, vcc_lo, v20, v101
	v_mov_b32_e32 v82, v4
	v_add_co_ci_u32_e64 v97, null, v21, v112, vcc_lo
	s_branch .LBB0_361
.LBB0_360:                              ;   in Loop: Header=BB0_361 Depth=2
	v_sub_nc_u32_e32 v46, v46, v103
	v_add_co_u32 v96, vcc_lo, v96, v103
	v_add_co_ci_u32_e64 v97, null, 0, v97, vcc_lo
	v_cmp_gt_i32_e32 vcc_lo, 1, v46
	v_add_co_u32 v80, s10, v80, v103
	v_add_co_ci_u32_e64 v81, null, 0, v81, s10
	v_add_nc_u32_e32 v82, v82, v1
	s_or_b32 s12, vcc_lo, s12
	s_andn2_b32 exec_lo, exec_lo, s12
	s_cbranch_execz .LBB0_587
.LBB0_361:                              ;   Parent Loop BB0_36 Depth=1
                                        ; =>  This Loop Header: Depth=2
                                        ;       Child Loop BB0_369 Depth 3
	v_and_b32_e32 v18, -4, v96
	v_mov_b32_e32 v19, v97
	v_min_u32_e32 v20, 8, v46
	v_and_b32_e32 v21, 3, v96
	v_mov_b32_e32 v98, 0
	v_mov_b32_e32 v99, 0
	global_load_dword v47, v[18:19], off slc
	s_mov_b32 s10, exec_lo
	v_add_nc_u32_e32 v54, v21, v20
	v_cmpx_lt_u32_e32 4, v54
	s_cbranch_execz .LBB0_363
; %bb.362:                              ;   in Loop: Header=BB0_361 Depth=2
	global_load_dword v99, v[18:19], off offset:4 slc
.LBB0_363:                              ;   in Loop: Header=BB0_361 Depth=2
	s_or_b32 exec_lo, exec_lo, s10
	s_mov_b32 s10, exec_lo
	v_cmpx_lt_u64_e32 8, v[54:55]
	s_cbranch_execz .LBB0_365
; %bb.364:                              ;   in Loop: Header=BB0_361 Depth=2
	global_load_dword v98, v[18:19], off offset:8 slc
.LBB0_365:                              ;   in Loop: Header=BB0_361 Depth=2
	s_or_b32 exec_lo, exec_lo, s10
	v_ashrrev_i32_e32 v83, 31, v82
	s_mov_b32 s22, exec_lo
	v_lshlrev_b64 v[18:19], 4, v[82:83]
	v_add_co_u32 v83, vcc_lo, v86, v18
	v_add_co_ci_u32_e64 v84, null, v87, v19, vcc_lo
	global_load_dwordx4 v[18:21], v[83:84], off slc
	v_cmpx_eq_u32_e32 0, v45
	s_cbranch_execz .LBB0_377
; %bb.366:                              ;   in Loop: Header=BB0_361 Depth=2
	s_waitcnt vmcnt(0)
	v_cmp_ne_u32_e32 vcc_lo, v85, v19
	v_cmp_ne_u32_e64 s10, v85, v21
	v_mov_b32_e32 v45, 0
	s_or_b32 s10, vcc_lo, s10
	s_and_saveexec_b32 s23, s10
	s_cbranch_execz .LBB0_376
; %bb.367:                              ;   in Loop: Header=BB0_361 Depth=2
	s_mov_b32 s27, 1
	s_mov_b32 s25, 0
                                        ; implicit-def: $sgpr24
                                        ; implicit-def: $sgpr26
	s_inst_prefetch 0x1
	s_branch .LBB0_369
	.p2align	6
.LBB0_368:                              ;   in Loop: Header=BB0_369 Depth=3
	s_or_b32 exec_lo, exec_lo, s29
	s_and_b32 s10, exec_lo, s10
	s_or_b32 s25, s10, s25
	s_andn2_b32 s10, s24, exec_lo
	s_and_b32 s24, s26, exec_lo
	s_or_b32 s24, s10, s24
	s_andn2_b32 exec_lo, exec_lo, s25
	s_cbranch_execz .LBB0_373
.LBB0_369:                              ;   Parent Loop BB0_36 Depth=1
                                        ;     Parent Loop BB0_361 Depth=2
                                        ; =>    This Inner Loop Header: Depth=3
	global_load_dwordx4 v[18:21], v[83:84], off slc
	s_add_i32 s27, s27, 1
	s_mov_b32 s10, -1
	s_cmpk_lg_i32 s27, 0x2710
	s_mov_b32 s28, -1
                                        ; implicit-def: $vgpr54
	s_cbranch_scc0 .LBB0_371
; %bb.370:                              ;   in Loop: Header=BB0_369 Depth=3
	s_or_b32 s26, s26, exec_lo
	s_and_saveexec_b32 s29, s28
	s_cbranch_execz .LBB0_368
	s_branch .LBB0_372
	.p2align	6
.LBB0_371:                              ;   in Loop: Header=BB0_369 Depth=3
	s_trap 2
	ds_read_b64 v[56:57], v0
	s_mov_b32 s27, 0
	s_waitcnt vmcnt(0) lgkmcnt(0)
	s_waitcnt_vscnt null, 0x0
	flat_load_dword v54, v[56:57] glc dlc
	s_waitcnt vmcnt(0) lgkmcnt(0)
	buffer_gl1_inv
	buffer_gl0_inv
	v_cmp_eq_u32_e32 vcc_lo, 0, v54
	s_orn2_b32 s28, vcc_lo, exec_lo
	s_or_b32 s26, s26, exec_lo
	s_and_saveexec_b32 s29, s28
	s_cbranch_execz .LBB0_368
.LBB0_372:                              ;   in Loop: Header=BB0_369 Depth=3
	s_waitcnt vmcnt(0)
	v_cmp_eq_u32_e32 vcc_lo, v85, v19
	v_cmp_eq_u32_e64 s10, v85, v21
	s_andn2_b32 s26, s26, exec_lo
	s_and_b32 s10, vcc_lo, s10
	s_orn2_b32 s10, s10, exec_lo
	s_branch .LBB0_368
.LBB0_373:                              ;   in Loop: Header=BB0_361 Depth=2
	s_inst_prefetch 0x2
	s_or_b32 exec_lo, exec_lo, s25
	v_mov_b32_e32 v45, 0
	s_and_saveexec_b32 s10, s24
	s_xor_b32 s10, exec_lo, s10
	s_cbranch_execz .LBB0_375
; %bb.374:                              ;   in Loop: Header=BB0_361 Depth=2
	v_mov_b32_e32 v45, 1
	s_waitcnt vmcnt(0)
	s_waitcnt_vscnt null, 0x0
	ds_write_b32 v0, v54
	s_trap 2
.LBB0_375:                              ;   in Loop: Header=BB0_361 Depth=2
	s_or_b32 exec_lo, exec_lo, s10
.LBB0_376:                              ;   in Loop: Header=BB0_361 Depth=2
	s_or_b32 exec_lo, exec_lo, s23
.LBB0_377:                              ;   in Loop: Header=BB0_361 Depth=2
	s_or_b32 exec_lo, exec_lo, s22
	s_waitcnt vmcnt(0)
	v_cmp_gt_i16_sdwa s22, v18, v40 src0_sel:BYTE_0 src1_sel:DWORD
	s_mov_b32 s10, 0
	s_and_saveexec_b32 s23, s22
	s_xor_b32 s22, exec_lo, s23
	s_cbranch_execnz .LBB0_523
; %bb.378:                              ;   in Loop: Header=BB0_361 Depth=2
	s_or_saveexec_b32 s22, s22
	v_mov_b32_e32 v19, 0x7f800001
	s_xor_b32 exec_lo, exec_lo, s22
	s_cbranch_execnz .LBB0_526
.LBB0_379:                              ;   in Loop: Header=BB0_361 Depth=2
	s_or_b32 exec_lo, exec_lo, s22
	s_and_saveexec_b32 s22, s10
	s_cbranch_execz .LBB0_381
.LBB0_380:                              ;   in Loop: Header=BB0_361 Depth=2
	v_and_b32_e32 v19, 3, v18
	v_bfe_u32 v83, v18, 2, 5
	v_lshlrev_b32_e32 v84, 24, v18
	v_ffbh_u32_e32 v21, v19
	v_cmp_eq_u32_e32 vcc_lo, 0, v83
	v_min_u32_e32 v21, 32, v21
	v_subrev_nc_u32_e32 v54, 29, v21
	v_sub_nc_u32_e32 v21, 30, v21
	v_lshlrev_b32_e32 v54, v54, v18
	v_cndmask_b32_e32 v21, v83, v21, vcc_lo
	v_and_b32_e32 v54, 3, v54
	v_lshl_add_u32 v21, v21, 23, 0x37800000
	v_cndmask_b32_e32 v19, v19, v54, vcc_lo
	v_and_b32_e32 v54, 0x80000000, v84
	v_lshlrev_b32_e32 v19, 21, v19
	v_or3_b32 v19, v54, v21, v19
.LBB0_381:                              ;   in Loop: Header=BB0_361 Depth=2
	s_or_b32 exec_lo, exec_lo, s22
	v_lshlrev_b32_e32 v83, 3, v96
	s_mov_b32 s10, 0
	v_alignbit_b32 v84, v99, v47, v83
	v_cmp_gt_i16_sdwa s22, v84, v40 src0_sel:BYTE_0 src1_sel:DWORD
	s_and_saveexec_b32 s23, s22
	s_xor_b32 s22, exec_lo, s23
	s_cbranch_execnz .LBB0_527
; %bb.382:                              ;   in Loop: Header=BB0_361 Depth=2
	s_or_saveexec_b32 s22, s22
	v_mov_b32_e32 v21, 0x7f800001
	s_xor_b32 exec_lo, exec_lo, s22
	s_cbranch_execnz .LBB0_530
.LBB0_383:                              ;   in Loop: Header=BB0_361 Depth=2
	s_or_b32 exec_lo, exec_lo, s22
	s_and_saveexec_b32 s22, s10
	s_cbranch_execz .LBB0_385
.LBB0_384:                              ;   in Loop: Header=BB0_361 Depth=2
	v_and_b32_e32 v21, 3, v84
	v_bfe_u32 v56, v84, 2, 5
	v_lshlrev_b32_e32 v57, 24, v84
	v_ffbh_u32_e32 v54, v21
	v_cmp_eq_u32_e32 vcc_lo, 0, v56
	v_min_u32_e32 v54, 32, v54
	v_subrev_nc_u32_e32 v47, 29, v54
	v_sub_nc_u32_e32 v54, 30, v54
	v_lshlrev_b32_e32 v47, v47, v84
	v_cndmask_b32_e32 v54, v56, v54, vcc_lo
	v_and_b32_e32 v47, 3, v47
	v_lshl_add_u32 v54, v54, 23, 0x37800000
	v_cndmask_b32_e32 v21, v21, v47, vcc_lo
	v_and_b32_e32 v47, 0x80000000, v57
	v_lshlrev_b32_e32 v21, 21, v21
	v_or3_b32 v21, v47, v54, v21
.LBB0_385:                              ;   in Loop: Header=BB0_361 Depth=2
	s_or_b32 exec_lo, exec_lo, s22
	v_mul_f32_e32 v21, v19, v21
	v_and_b32_e32 v19, 0x7f800000, v21
	v_cmp_ne_u32_e32 vcc_lo, 0x7f800000, v19
	v_mov_b32_e32 v19, 0x80
	s_and_saveexec_b32 s22, vcc_lo
	s_cbranch_execz .LBB0_393
; %bb.386:                              ;   in Loop: Header=BB0_361 Depth=2
	v_mov_b32_e32 v19, 0
	s_mov_b32 s23, exec_lo
	v_cmpx_ne_u32_e32 0, v21
	s_cbranch_execz .LBB0_392
; %bb.387:                              ;   in Loop: Header=BB0_361 Depth=2
	v_bfe_u32 v19, v21, 23, 8
	v_and_b32_e32 v54, 0x7fffff, v21
	v_sub_nc_u32_e32 v47, 0x70, v19
	v_cmp_gt_u32_e32 vcc_lo, 0x71, v19
	v_or_b32_e32 v56, 0x800000, v54
	v_cndmask_b32_e32 v47, 0, v47, vcc_lo
	v_cmp_eq_u32_e32 vcc_lo, 0, v19
	v_add_nc_u32_e32 v19, 0xffffff91, v19
	v_cndmask_b32_e64 v47, v47, 0x6f, vcc_lo
	v_cndmask_b32_e32 v54, v56, v54, vcc_lo
	v_cndmask_b32_e64 v19, v19, 0xffffff92, vcc_lo
	v_lshl_add_u32 v56, 0x200000, v47, -1
	v_lshrrev_b32_e32 v57, v47, v54
	v_lshlrev_b32_e64 v59, v47, 0x100000
	v_add_nc_u32_e32 v47, v47, v19
	v_and_b32_e32 v54, v56, v54
	v_bfe_u32 v58, v57, 21, 1
	v_cmp_eq_u32_e64 s10, v54, v59
	v_add_nc_u32_e32 v56, -1, v58
	v_cndmask_b32_e64 v54, 0, v56, s10
	v_lshrrev_b32_e32 v56, 23, v57
	s_mov_b32 s10, exec_lo
	v_add_nc_u32_e32 v54, v54, v57
	v_xor_b32_e32 v56, 1, v56
	v_and_b32_e32 v19, 0x1fffff, v54
	v_add_nc_u32_e32 v54, v19, v57
                                        ; implicit-def: $vgpr19
	v_cmpx_ne_u32_e64 v47, v56
	s_xor_b32 s10, exec_lo, s10
; %bb.388:                              ;   in Loop: Header=BB0_361 Depth=2
	v_cmp_lt_u32_e32 vcc_lo, 0xffffff, v54
	v_sub_nc_u32_e32 v19, v47, v56
	v_cndmask_b32_e64 v47, 0, 1, vcc_lo
	v_add_co_ci_u32_e64 v19, null, 0, v19, vcc_lo
	v_lshrrev_b32_e32 v54, v47, v54
; %bb.389:                              ;   in Loop: Header=BB0_361 Depth=2
	s_andn2_saveexec_b32 s10, s10
; %bb.390:                              ;   in Loop: Header=BB0_361 Depth=2
	v_bfe_u32 v19, v54, 23, 1
; %bb.391:                              ;   in Loop: Header=BB0_361 Depth=2
	s_or_b32 exec_lo, exec_lo, s10
	v_lshrrev_b32_e32 v54, 21, v54
	v_min_i32_e32 v47, 31, v19
	v_cmp_gt_i32_e32 vcc_lo, 32, v19
	v_and_b32_sdwa v21, v21, v41 dst_sel:DWORD dst_unused:UNUSED_PAD src0_sel:BYTE_3 src1_sel:DWORD
	v_lshlrev_b32_e32 v47, 2, v47
	v_cndmask_b32_e32 v54, 3, v54, vcc_lo
	v_and_b32_e32 v47, 0xfc, v47
	v_and_b32_e32 v56, 3, v54
	v_or_b32_e32 v19, v19, v54
	v_or3_b32 v21, v47, v21, v56
	v_cmp_ne_u32_e32 vcc_lo, 0, v19
	v_cndmask_b32_e32 v19, 0, v21, vcc_lo
.LBB0_392:                              ;   in Loop: Header=BB0_361 Depth=2
	s_or_b32 exec_lo, exec_lo, s23
.LBB0_393:                              ;   in Loop: Header=BB0_361 Depth=2
	s_or_b32 exec_lo, exec_lo, s22
	v_cmp_gt_i16_sdwa s22, v18, v40 src0_sel:BYTE_1 src1_sel:DWORD
	s_mov_b32 s10, 0
	s_and_saveexec_b32 s23, s22
	s_xor_b32 s22, exec_lo, s23
	s_cbranch_execnz .LBB0_531
; %bb.394:                              ;   in Loop: Header=BB0_361 Depth=2
	s_or_saveexec_b32 s22, s22
	v_mov_b32_e32 v21, 0x7f800001
	s_xor_b32 exec_lo, exec_lo, s22
	s_cbranch_execnz .LBB0_534
.LBB0_395:                              ;   in Loop: Header=BB0_361 Depth=2
	s_or_b32 exec_lo, exec_lo, s22
	s_and_saveexec_b32 s22, s10
	s_cbranch_execz .LBB0_397
.LBB0_396:                              ;   in Loop: Header=BB0_361 Depth=2
	v_and_b32_sdwa v21, v42, v18 dst_sel:DWORD dst_unused:UNUSED_PAD src0_sel:DWORD src1_sel:BYTE_1
	v_and_b32_e32 v54, 3, v21
	v_bfe_u32 v57, v21, 2, 5
	v_ffbh_u32_e32 v47, v54
	v_cmp_eq_u32_e32 vcc_lo, 0, v57
	v_min_u32_e32 v47, 32, v47
	v_subrev_nc_u32_e32 v56, 29, v47
	v_sub_nc_u32_e32 v47, 30, v47
	v_lshlrev_b32_e32 v21, v56, v21
	v_lshlrev_b32_sdwa v56, v43, v18 dst_sel:DWORD dst_unused:UNUSED_PAD src0_sel:DWORD src1_sel:BYTE_1
	v_cndmask_b32_e32 v47, v57, v47, vcc_lo
	v_and_b32_e32 v21, 3, v21
	v_lshl_add_u32 v47, v47, 23, 0x37800000
	v_cndmask_b32_e32 v21, v54, v21, vcc_lo
	v_and_b32_e32 v54, 0x80000000, v56
	v_lshlrev_b32_e32 v21, 21, v21
	v_or3_b32 v21, v54, v47, v21
.LBB0_397:                              ;   in Loop: Header=BB0_361 Depth=2
	s_or_b32 exec_lo, exec_lo, s22
	v_cmp_gt_i16_sdwa s22, v84, v40 src0_sel:BYTE_1 src1_sel:DWORD
	s_mov_b32 s10, 0
	s_and_saveexec_b32 s23, s22
	s_xor_b32 s22, exec_lo, s23
	s_cbranch_execnz .LBB0_535
; %bb.398:                              ;   in Loop: Header=BB0_361 Depth=2
	s_or_saveexec_b32 s22, s22
	v_mov_b32_e32 v54, 0x7f800001
	s_xor_b32 exec_lo, exec_lo, s22
	s_cbranch_execnz .LBB0_538
.LBB0_399:                              ;   in Loop: Header=BB0_361 Depth=2
	s_or_b32 exec_lo, exec_lo, s22
	s_and_saveexec_b32 s22, s10
	s_cbranch_execz .LBB0_401
.LBB0_400:                              ;   in Loop: Header=BB0_361 Depth=2
	v_and_b32_sdwa v54, v42, v84 dst_sel:DWORD dst_unused:UNUSED_PAD src0_sel:DWORD src1_sel:BYTE_1
	v_and_b32_e32 v47, 3, v54
	v_bfe_u32 v58, v54, 2, 5
	v_ffbh_u32_e32 v56, v47
	v_cmp_eq_u32_e32 vcc_lo, 0, v58
	v_min_u32_e32 v56, 32, v56
	v_subrev_nc_u32_e32 v57, 29, v56
	v_sub_nc_u32_e32 v56, 30, v56
	v_lshlrev_b32_e32 v54, v57, v54
	v_lshlrev_b32_sdwa v57, v43, v84 dst_sel:DWORD dst_unused:UNUSED_PAD src0_sel:DWORD src1_sel:BYTE_1
	v_cndmask_b32_e32 v56, v58, v56, vcc_lo
	v_and_b32_e32 v54, 3, v54
	v_lshl_add_u32 v56, v56, 23, 0x37800000
	v_cndmask_b32_e32 v54, v47, v54, vcc_lo
	v_and_b32_e32 v47, 0x80000000, v57
	v_lshlrev_b32_e32 v54, 21, v54
	v_or3_b32 v54, v47, v56, v54
.LBB0_401:                              ;   in Loop: Header=BB0_361 Depth=2
	s_or_b32 exec_lo, exec_lo, s22
	v_mul_f32_e32 v54, v21, v54
	v_and_b32_e32 v21, 0x7f800000, v54
	v_cmp_ne_u32_e32 vcc_lo, 0x7f800000, v21
	v_mov_b32_e32 v21, 0x8000
	s_and_saveexec_b32 s22, vcc_lo
	s_cbranch_execz .LBB0_409
; %bb.402:                              ;   in Loop: Header=BB0_361 Depth=2
	v_mov_b32_e32 v21, 0
	s_mov_b32 s23, exec_lo
	v_cmpx_ne_u32_e32 0, v54
	s_cbranch_execz .LBB0_408
; %bb.403:                              ;   in Loop: Header=BB0_361 Depth=2
	v_bfe_u32 v21, v54, 23, 8
	v_and_b32_e32 v47, 0x7fffff, v54
	v_sub_nc_u32_e32 v56, 0x70, v21
	v_cmp_gt_u32_e32 vcc_lo, 0x71, v21
	v_or_b32_e32 v57, 0x800000, v47
	v_cndmask_b32_e32 v56, 0, v56, vcc_lo
	v_cmp_eq_u32_e32 vcc_lo, 0, v21
	v_add_nc_u32_e32 v21, 0xffffff91, v21
	v_cndmask_b32_e64 v56, v56, 0x6f, vcc_lo
	v_cndmask_b32_e32 v47, v57, v47, vcc_lo
	v_cndmask_b32_e64 v21, v21, 0xffffff92, vcc_lo
	v_lshl_add_u32 v57, 0x200000, v56, -1
	v_lshrrev_b32_e32 v58, v56, v47
	v_lshlrev_b32_e64 v60, v56, 0x100000
	v_add_nc_u32_e32 v56, v56, v21
	v_and_b32_e32 v47, v57, v47
	v_bfe_u32 v59, v58, 21, 1
	v_cmp_eq_u32_e64 s10, v47, v60
	v_add_nc_u32_e32 v57, -1, v59
	v_cndmask_b32_e64 v47, 0, v57, s10
	v_lshrrev_b32_e32 v57, 23, v58
	s_mov_b32 s10, exec_lo
	v_add_nc_u32_e32 v47, v47, v58
	v_xor_b32_e32 v57, 1, v57
	v_and_b32_e32 v21, 0x1fffff, v47
	v_add_nc_u32_e32 v47, v21, v58
                                        ; implicit-def: $vgpr21
	v_cmpx_ne_u32_e64 v56, v57
	s_xor_b32 s10, exec_lo, s10
; %bb.404:                              ;   in Loop: Header=BB0_361 Depth=2
	v_cmp_lt_u32_e32 vcc_lo, 0xffffff, v47
	v_sub_nc_u32_e32 v21, v56, v57
	v_cndmask_b32_e64 v56, 0, 1, vcc_lo
	v_add_co_ci_u32_e64 v21, null, 0, v21, vcc_lo
	v_lshrrev_b32_e32 v47, v56, v47
; %bb.405:                              ;   in Loop: Header=BB0_361 Depth=2
	s_andn2_saveexec_b32 s10, s10
; %bb.406:                              ;   in Loop: Header=BB0_361 Depth=2
	v_bfe_u32 v21, v47, 23, 1
; %bb.407:                              ;   in Loop: Header=BB0_361 Depth=2
	s_or_b32 exec_lo, exec_lo, s10
	v_lshrrev_b32_e32 v47, 21, v47
	v_min_i32_e32 v56, 31, v21
	v_cmp_gt_i32_e32 vcc_lo, 32, v21
	v_and_b32_sdwa v54, v54, v41 dst_sel:DWORD dst_unused:UNUSED_PAD src0_sel:BYTE_3 src1_sel:DWORD
	v_lshlrev_b32_e32 v56, 2, v56
	v_cndmask_b32_e32 v47, 3, v47, vcc_lo
	v_and_b32_e32 v56, 0xfc, v56
	v_and_b32_e32 v57, 3, v47
	v_or_b32_e32 v21, v21, v47
	v_or3_b32 v54, v54, v56, v57
	v_cmp_ne_u32_e32 vcc_lo, 0, v21
	v_lshlrev_b32_e32 v54, 8, v54
	v_cndmask_b32_e32 v21, 0, v54, vcc_lo
.LBB0_408:                              ;   in Loop: Header=BB0_361 Depth=2
	s_or_b32 exec_lo, exec_lo, s23
.LBB0_409:                              ;   in Loop: Header=BB0_361 Depth=2
	s_or_b32 exec_lo, exec_lo, s22
	v_and_b32_sdwa v47, v18, v44 dst_sel:DWORD dst_unused:UNUSED_PAD src0_sel:WORD_1 src1_sel:DWORD
	s_mov_b32 s10, 0
	s_mov_b32 s22, exec_lo
	v_cmpx_lt_i16_e32 0x7f, v47
	s_xor_b32 s22, exec_lo, s22
	s_cbranch_execnz .LBB0_539
; %bb.410:                              ;   in Loop: Header=BB0_361 Depth=2
	s_or_saveexec_b32 s22, s22
	v_mov_b32_e32 v54, 0x7f800001
	s_xor_b32 exec_lo, exec_lo, s22
	s_cbranch_execnz .LBB0_542
.LBB0_411:                              ;   in Loop: Header=BB0_361 Depth=2
	s_or_b32 exec_lo, exec_lo, s22
	s_and_saveexec_b32 s22, s10
	s_cbranch_execz .LBB0_413
.LBB0_412:                              ;   in Loop: Header=BB0_361 Depth=2
	v_bfe_u32 v54, v18, 16, 2
	v_bfe_u32 v57, v18, 18, 5
	v_lshlrev_b32_e32 v58, 8, v18
	v_ffbh_u32_e32 v47, v54
	v_cmp_eq_u32_e32 vcc_lo, 0, v57
	v_min_u32_e32 v47, 32, v47
	v_subrev_nc_u32_e32 v56, 29, v47
	v_sub_nc_u32_e32 v47, 30, v47
	v_lshlrev_b32_sdwa v56, v56, v18 dst_sel:DWORD dst_unused:UNUSED_PAD src0_sel:DWORD src1_sel:WORD_1
	v_cndmask_b32_e32 v47, v57, v47, vcc_lo
	v_and_b32_e32 v56, 3, v56
	v_lshl_add_u32 v47, v47, 23, 0x37800000
	v_cndmask_b32_e32 v54, v54, v56, vcc_lo
	v_and_b32_e32 v56, 0x80000000, v58
	v_lshlrev_b32_e32 v54, 21, v54
	v_or3_b32 v54, v56, v47, v54
.LBB0_413:                              ;   in Loop: Header=BB0_361 Depth=2
	s_or_b32 exec_lo, exec_lo, s22
	v_and_b32_sdwa v56, v84, v44 dst_sel:DWORD dst_unused:UNUSED_PAD src0_sel:WORD_1 src1_sel:DWORD
	s_mov_b32 s10, 0
	s_mov_b32 s22, exec_lo
	v_cmpx_lt_i16_e32 0x7f, v56
	s_xor_b32 s22, exec_lo, s22
	s_cbranch_execnz .LBB0_543
; %bb.414:                              ;   in Loop: Header=BB0_361 Depth=2
	s_or_saveexec_b32 s22, s22
	v_mov_b32_e32 v47, 0x7f800001
	s_xor_b32 exec_lo, exec_lo, s22
	s_cbranch_execnz .LBB0_546
.LBB0_415:                              ;   in Loop: Header=BB0_361 Depth=2
	s_or_b32 exec_lo, exec_lo, s22
	s_and_saveexec_b32 s22, s10
	s_cbranch_execz .LBB0_417
.LBB0_416:                              ;   in Loop: Header=BB0_361 Depth=2
	v_bfe_u32 v47, v84, 16, 2
	v_bfe_u32 v58, v84, 18, 5
	v_lshlrev_b32_e32 v59, 8, v84
	v_ffbh_u32_e32 v56, v47
	v_cmp_eq_u32_e32 vcc_lo, 0, v58
	v_min_u32_e32 v56, 32, v56
	v_subrev_nc_u32_e32 v57, 29, v56
	v_sub_nc_u32_e32 v56, 30, v56
	v_lshlrev_b32_sdwa v57, v57, v84 dst_sel:DWORD dst_unused:UNUSED_PAD src0_sel:DWORD src1_sel:WORD_1
	v_cndmask_b32_e32 v56, v58, v56, vcc_lo
	v_and_b32_e32 v57, 3, v57
	v_lshl_add_u32 v56, v56, 23, 0x37800000
	v_cndmask_b32_e32 v47, v47, v57, vcc_lo
	v_and_b32_e32 v57, 0x80000000, v59
	v_lshlrev_b32_e32 v47, 21, v47
	v_or3_b32 v47, v57, v56, v47
.LBB0_417:                              ;   in Loop: Header=BB0_361 Depth=2
	s_or_b32 exec_lo, exec_lo, s22
	v_mul_f32_e32 v47, v54, v47
	v_and_b32_e32 v54, 0x7f800000, v47
	v_cmp_ne_u32_e32 vcc_lo, 0x7f800000, v54
	v_mov_b32_e32 v54, 0x80
	s_and_saveexec_b32 s22, vcc_lo
	s_cbranch_execz .LBB0_425
; %bb.418:                              ;   in Loop: Header=BB0_361 Depth=2
	v_mov_b32_e32 v54, 0
	s_mov_b32 s23, exec_lo
	v_cmpx_ne_u32_e32 0, v47
	s_cbranch_execz .LBB0_424
; %bb.419:                              ;   in Loop: Header=BB0_361 Depth=2
	v_bfe_u32 v54, v47, 23, 8
	v_and_b32_e32 v56, 0x7fffff, v47
	v_sub_nc_u32_e32 v57, 0x70, v54
	v_cmp_gt_u32_e32 vcc_lo, 0x71, v54
	v_or_b32_e32 v58, 0x800000, v56
	v_cndmask_b32_e32 v57, 0, v57, vcc_lo
	v_cmp_eq_u32_e32 vcc_lo, 0, v54
	v_add_nc_u32_e32 v54, 0xffffff91, v54
	v_cndmask_b32_e64 v57, v57, 0x6f, vcc_lo
	v_cndmask_b32_e32 v56, v58, v56, vcc_lo
	v_cndmask_b32_e64 v54, v54, 0xffffff92, vcc_lo
	v_lshl_add_u32 v58, 0x200000, v57, -1
	v_lshrrev_b32_e32 v59, v57, v56
	v_lshlrev_b32_e64 v61, v57, 0x100000
	v_add_nc_u32_e32 v57, v57, v54
	v_and_b32_e32 v56, v58, v56
	v_bfe_u32 v60, v59, 21, 1
	v_cmp_eq_u32_e64 s10, v56, v61
	v_add_nc_u32_e32 v58, -1, v60
	v_cndmask_b32_e64 v56, 0, v58, s10
	v_lshrrev_b32_e32 v58, 23, v59
	s_mov_b32 s10, exec_lo
	v_add_nc_u32_e32 v56, v56, v59
	v_xor_b32_e32 v58, 1, v58
	v_and_b32_e32 v54, 0x1fffff, v56
	v_add_nc_u32_e32 v56, v54, v59
                                        ; implicit-def: $vgpr54
	v_cmpx_ne_u32_e64 v57, v58
	s_xor_b32 s10, exec_lo, s10
; %bb.420:                              ;   in Loop: Header=BB0_361 Depth=2
	v_cmp_lt_u32_e32 vcc_lo, 0xffffff, v56
	v_sub_nc_u32_e32 v54, v57, v58
	v_cndmask_b32_e64 v57, 0, 1, vcc_lo
	v_add_co_ci_u32_e64 v54, null, 0, v54, vcc_lo
	v_lshrrev_b32_e32 v56, v57, v56
; %bb.421:                              ;   in Loop: Header=BB0_361 Depth=2
	s_andn2_saveexec_b32 s10, s10
; %bb.422:                              ;   in Loop: Header=BB0_361 Depth=2
	v_bfe_u32 v54, v56, 23, 1
; %bb.423:                              ;   in Loop: Header=BB0_361 Depth=2
	s_or_b32 exec_lo, exec_lo, s10
	v_lshrrev_b32_e32 v56, 21, v56
	v_min_i32_e32 v57, 31, v54
	v_cmp_gt_i32_e32 vcc_lo, 32, v54
	v_and_b32_sdwa v47, v47, v41 dst_sel:DWORD dst_unused:UNUSED_PAD src0_sel:BYTE_3 src1_sel:DWORD
	v_lshlrev_b32_e32 v57, 2, v57
	v_cndmask_b32_e32 v56, 3, v56, vcc_lo
	v_and_b32_e32 v57, 0xfc, v57
	v_and_b32_e32 v58, 3, v56
	v_or_b32_e32 v54, v54, v56
	v_or3_b32 v47, v57, v47, v58
	v_cmp_ne_u32_e32 vcc_lo, 0, v54
	v_cndmask_b32_e32 v54, 0, v47, vcc_lo
.LBB0_424:                              ;   in Loop: Header=BB0_361 Depth=2
	s_or_b32 exec_lo, exec_lo, s23
.LBB0_425:                              ;   in Loop: Header=BB0_361 Depth=2
	s_or_b32 exec_lo, exec_lo, s22
	v_cmp_gt_i16_sdwa s22, v18, v40 src0_sel:BYTE_3 src1_sel:DWORD
	s_mov_b32 s10, 0
	s_and_saveexec_b32 s23, s22
	s_xor_b32 s22, exec_lo, s23
	s_cbranch_execnz .LBB0_547
; %bb.426:                              ;   in Loop: Header=BB0_361 Depth=2
	s_or_saveexec_b32 s22, s22
	v_mov_b32_e32 v47, 0x7f800001
	s_xor_b32 exec_lo, exec_lo, s22
	s_cbranch_execnz .LBB0_550
.LBB0_427:                              ;   in Loop: Header=BB0_361 Depth=2
	s_or_b32 exec_lo, exec_lo, s22
	s_and_saveexec_b32 s22, s10
	s_cbranch_execz .LBB0_429
.LBB0_428:                              ;   in Loop: Header=BB0_361 Depth=2
	v_bfe_u32 v47, v18, 24, 2
	v_bfe_u32 v58, v18, 26, 5
	v_ffbh_u32_e32 v56, v47
	v_cmp_eq_u32_e32 vcc_lo, 0, v58
	v_min_u32_e32 v56, 32, v56
	v_subrev_nc_u32_e32 v57, 29, v56
	v_sub_nc_u32_e32 v56, 30, v56
	v_lshlrev_b32_sdwa v57, v57, v18 dst_sel:DWORD dst_unused:UNUSED_PAD src0_sel:DWORD src1_sel:BYTE_3
	v_cndmask_b32_e32 v56, v58, v56, vcc_lo
	v_and_b32_e32 v18, 0x80000000, v18
	v_and_b32_e32 v57, 3, v57
	v_lshl_add_u32 v56, v56, 23, 0x37800000
	v_cndmask_b32_e32 v47, v47, v57, vcc_lo
	v_lshlrev_b32_e32 v47, 21, v47
	v_or3_b32 v47, v18, v56, v47
.LBB0_429:                              ;   in Loop: Header=BB0_361 Depth=2
	s_or_b32 exec_lo, exec_lo, s22
	v_cmp_gt_i16_sdwa s22, v84, v40 src0_sel:BYTE_3 src1_sel:DWORD
	s_mov_b32 s10, 0
	s_and_saveexec_b32 s23, s22
	s_xor_b32 s22, exec_lo, s23
	s_cbranch_execnz .LBB0_551
; %bb.430:                              ;   in Loop: Header=BB0_361 Depth=2
	s_or_saveexec_b32 s22, s22
	v_mov_b32_e32 v18, 0x7f800001
	s_xor_b32 exec_lo, exec_lo, s22
	s_cbranch_execnz .LBB0_554
.LBB0_431:                              ;   in Loop: Header=BB0_361 Depth=2
	s_or_b32 exec_lo, exec_lo, s22
	s_and_saveexec_b32 s22, s10
	s_cbranch_execz .LBB0_433
.LBB0_432:                              ;   in Loop: Header=BB0_361 Depth=2
	v_bfe_u32 v18, v84, 24, 2
	v_bfe_u32 v58, v84, 26, 5
	v_ffbh_u32_e32 v56, v18
	v_cmp_eq_u32_e32 vcc_lo, 0, v58
	v_min_u32_e32 v56, 32, v56
	v_subrev_nc_u32_e32 v57, 29, v56
	v_sub_nc_u32_e32 v56, 30, v56
	v_lshlrev_b32_sdwa v57, v57, v84 dst_sel:DWORD dst_unused:UNUSED_PAD src0_sel:DWORD src1_sel:BYTE_3
	v_cndmask_b32_e32 v56, v58, v56, vcc_lo
	v_and_b32_e32 v84, 0x80000000, v84
	v_and_b32_e32 v57, 3, v57
	v_lshl_add_u32 v56, v56, 23, 0x37800000
	v_cndmask_b32_e32 v18, v18, v57, vcc_lo
	v_lshlrev_b32_e32 v18, 21, v18
	v_or3_b32 v18, v84, v56, v18
.LBB0_433:                              ;   in Loop: Header=BB0_361 Depth=2
	s_or_b32 exec_lo, exec_lo, s22
	v_mul_f32_e32 v84, v47, v18
	v_and_b32_e32 v18, 0x7f800000, v84
	v_cmp_ne_u32_e32 vcc_lo, 0x7f800000, v18
	v_mov_b32_e32 v18, 0x8000
	s_and_saveexec_b32 s22, vcc_lo
	s_cbranch_execz .LBB0_441
; %bb.434:                              ;   in Loop: Header=BB0_361 Depth=2
	v_mov_b32_e32 v18, 0
	s_mov_b32 s23, exec_lo
	v_cmpx_ne_u32_e32 0, v84
	s_cbranch_execz .LBB0_440
; %bb.435:                              ;   in Loop: Header=BB0_361 Depth=2
	v_bfe_u32 v18, v84, 23, 8
	v_and_b32_e32 v47, 0x7fffff, v84
	v_sub_nc_u32_e32 v56, 0x70, v18
	v_cmp_gt_u32_e32 vcc_lo, 0x71, v18
	v_or_b32_e32 v57, 0x800000, v47
	v_cndmask_b32_e32 v56, 0, v56, vcc_lo
	v_cmp_eq_u32_e32 vcc_lo, 0, v18
	v_add_nc_u32_e32 v18, 0xffffff91, v18
	v_cndmask_b32_e64 v56, v56, 0x6f, vcc_lo
	v_cndmask_b32_e32 v47, v57, v47, vcc_lo
	v_cndmask_b32_e64 v18, v18, 0xffffff92, vcc_lo
	v_lshl_add_u32 v57, 0x200000, v56, -1
	v_lshrrev_b32_e32 v58, v56, v47
	v_lshlrev_b32_e64 v60, v56, 0x100000
	v_add_nc_u32_e32 v56, v56, v18
	v_and_b32_e32 v47, v57, v47
	v_bfe_u32 v59, v58, 21, 1
	v_cmp_eq_u32_e64 s10, v47, v60
	v_add_nc_u32_e32 v57, -1, v59
	v_cndmask_b32_e64 v47, 0, v57, s10
	v_lshrrev_b32_e32 v57, 23, v58
	s_mov_b32 s10, exec_lo
	v_add_nc_u32_e32 v47, v47, v58
	v_xor_b32_e32 v57, 1, v57
	v_and_b32_e32 v18, 0x1fffff, v47
	v_add_nc_u32_e32 v47, v18, v58
                                        ; implicit-def: $vgpr18
	v_cmpx_ne_u32_e64 v56, v57
	s_xor_b32 s10, exec_lo, s10
; %bb.436:                              ;   in Loop: Header=BB0_361 Depth=2
	v_cmp_lt_u32_e32 vcc_lo, 0xffffff, v47
	v_sub_nc_u32_e32 v18, v56, v57
	v_cndmask_b32_e64 v56, 0, 1, vcc_lo
	v_add_co_ci_u32_e64 v18, null, 0, v18, vcc_lo
	v_lshrrev_b32_e32 v47, v56, v47
; %bb.437:                              ;   in Loop: Header=BB0_361 Depth=2
	s_andn2_saveexec_b32 s10, s10
; %bb.438:                              ;   in Loop: Header=BB0_361 Depth=2
	v_bfe_u32 v18, v47, 23, 1
; %bb.439:                              ;   in Loop: Header=BB0_361 Depth=2
	s_or_b32 exec_lo, exec_lo, s10
	v_lshrrev_b32_e32 v47, 21, v47
	v_min_i32_e32 v56, 31, v18
	v_cmp_gt_i32_e32 vcc_lo, 32, v18
	v_and_b32_sdwa v84, v84, v41 dst_sel:DWORD dst_unused:UNUSED_PAD src0_sel:BYTE_3 src1_sel:DWORD
	v_lshlrev_b32_e32 v56, 2, v56
	v_cndmask_b32_e32 v47, 3, v47, vcc_lo
	v_and_b32_e32 v56, 0xfc, v56
	v_and_b32_e32 v57, 3, v47
	v_or_b32_e32 v18, v18, v47
	v_or3_b32 v84, v84, v56, v57
	v_cmp_ne_u32_e32 vcc_lo, 0, v18
	v_lshlrev_b32_e32 v84, 8, v84
	v_cndmask_b32_e32 v18, 0, v84, vcc_lo
.LBB0_440:                              ;   in Loop: Header=BB0_361 Depth=2
	s_or_b32 exec_lo, exec_lo, s23
.LBB0_441:                              ;   in Loop: Header=BB0_361 Depth=2
	s_or_b32 exec_lo, exec_lo, s22
	v_cmp_gt_i16_sdwa s22, v20, v40 src0_sel:BYTE_0 src1_sel:DWORD
	s_mov_b32 s10, 0
	s_and_saveexec_b32 s23, s22
	s_xor_b32 s22, exec_lo, s23
	s_cbranch_execnz .LBB0_555
; %bb.442:                              ;   in Loop: Header=BB0_361 Depth=2
	s_or_saveexec_b32 s22, s22
	v_mov_b32_e32 v84, 0x7f800001
	s_xor_b32 exec_lo, exec_lo, s22
	s_cbranch_execnz .LBB0_558
.LBB0_443:                              ;   in Loop: Header=BB0_361 Depth=2
	s_or_b32 exec_lo, exec_lo, s22
	s_and_saveexec_b32 s22, s10
	s_cbranch_execz .LBB0_445
.LBB0_444:                              ;   in Loop: Header=BB0_361 Depth=2
	v_and_b32_e32 v84, 3, v20
	v_bfe_u32 v57, v20, 2, 5
	v_lshlrev_b32_e32 v58, 24, v20
	v_ffbh_u32_e32 v47, v84
	v_cmp_eq_u32_e32 vcc_lo, 0, v57
	v_min_u32_e32 v47, 32, v47
	v_subrev_nc_u32_e32 v56, 29, v47
	v_sub_nc_u32_e32 v47, 30, v47
	v_lshlrev_b32_e32 v56, v56, v20
	v_cndmask_b32_e32 v47, v57, v47, vcc_lo
	v_and_b32_e32 v56, 3, v56
	v_lshl_add_u32 v47, v47, 23, 0x37800000
	v_cndmask_b32_e32 v84, v84, v56, vcc_lo
	v_and_b32_e32 v56, 0x80000000, v58
	v_lshlrev_b32_e32 v84, 21, v84
	v_or3_b32 v84, v56, v47, v84
.LBB0_445:                              ;   in Loop: Header=BB0_361 Depth=2
	s_or_b32 exec_lo, exec_lo, s22
	v_alignbit_b32 v83, v98, v99, v83
	s_mov_b32 s10, 0
	v_cmp_gt_i16_sdwa s22, v83, v40 src0_sel:BYTE_0 src1_sel:DWORD
	s_and_saveexec_b32 s23, s22
	s_xor_b32 s22, exec_lo, s23
	s_cbranch_execnz .LBB0_559
; %bb.446:                              ;   in Loop: Header=BB0_361 Depth=2
	s_or_saveexec_b32 s22, s22
	v_mov_b32_e32 v98, 0x7f800001
	s_xor_b32 exec_lo, exec_lo, s22
	s_cbranch_execnz .LBB0_562
.LBB0_447:                              ;   in Loop: Header=BB0_361 Depth=2
	s_or_b32 exec_lo, exec_lo, s22
	s_and_saveexec_b32 s22, s10
	s_cbranch_execz .LBB0_449
.LBB0_448:                              ;   in Loop: Header=BB0_361 Depth=2
	v_and_b32_e32 v98, 3, v83
	v_bfe_u32 v56, v83, 2, 5
	v_lshlrev_b32_e32 v57, 24, v83
	v_ffbh_u32_e32 v99, v98
	v_cmp_eq_u32_e32 vcc_lo, 0, v56
	v_min_u32_e32 v99, 32, v99
	v_subrev_nc_u32_e32 v47, 29, v99
	v_sub_nc_u32_e32 v99, 30, v99
	v_lshlrev_b32_e32 v47, v47, v83
	v_cndmask_b32_e32 v99, v56, v99, vcc_lo
	v_and_b32_e32 v47, 3, v47
	v_lshl_add_u32 v99, v99, 23, 0x37800000
	v_cndmask_b32_e32 v98, v98, v47, vcc_lo
	v_and_b32_e32 v47, 0x80000000, v57
	v_lshlrev_b32_e32 v98, 21, v98
	v_or3_b32 v98, v47, v99, v98
.LBB0_449:                              ;   in Loop: Header=BB0_361 Depth=2
	s_or_b32 exec_lo, exec_lo, s22
	v_mul_f32_e32 v98, v84, v98
	v_and_b32_e32 v84, 0x7f800000, v98
	v_cmp_ne_u32_e32 vcc_lo, 0x7f800000, v84
	v_mov_b32_e32 v84, 0x80
	s_and_saveexec_b32 s22, vcc_lo
	s_cbranch_execz .LBB0_457
; %bb.450:                              ;   in Loop: Header=BB0_361 Depth=2
	v_mov_b32_e32 v84, 0
	s_mov_b32 s23, exec_lo
	v_cmpx_ne_u32_e32 0, v98
	s_cbranch_execz .LBB0_456
; %bb.451:                              ;   in Loop: Header=BB0_361 Depth=2
	v_bfe_u32 v84, v98, 23, 8
	v_and_b32_e32 v99, 0x7fffff, v98
	v_sub_nc_u32_e32 v47, 0x70, v84
	v_cmp_gt_u32_e32 vcc_lo, 0x71, v84
	v_or_b32_e32 v56, 0x800000, v99
	v_cndmask_b32_e32 v47, 0, v47, vcc_lo
	v_cmp_eq_u32_e32 vcc_lo, 0, v84
	v_add_nc_u32_e32 v84, 0xffffff91, v84
	v_cndmask_b32_e64 v47, v47, 0x6f, vcc_lo
	v_cndmask_b32_e32 v99, v56, v99, vcc_lo
	v_cndmask_b32_e64 v84, v84, 0xffffff92, vcc_lo
	v_lshl_add_u32 v56, 0x200000, v47, -1
	v_lshrrev_b32_e32 v57, v47, v99
	v_lshlrev_b32_e64 v59, v47, 0x100000
	v_add_nc_u32_e32 v47, v47, v84
	v_and_b32_e32 v99, v56, v99
	v_bfe_u32 v58, v57, 21, 1
	v_cmp_eq_u32_e64 s10, v99, v59
	v_add_nc_u32_e32 v56, -1, v58
	v_cndmask_b32_e64 v99, 0, v56, s10
	v_lshrrev_b32_e32 v56, 23, v57
	s_mov_b32 s10, exec_lo
	v_add_nc_u32_e32 v99, v99, v57
	v_xor_b32_e32 v56, 1, v56
	v_and_b32_e32 v84, 0x1fffff, v99
	v_add_nc_u32_e32 v99, v84, v57
                                        ; implicit-def: $vgpr84
	v_cmpx_ne_u32_e64 v47, v56
	s_xor_b32 s10, exec_lo, s10
; %bb.452:                              ;   in Loop: Header=BB0_361 Depth=2
	v_cmp_lt_u32_e32 vcc_lo, 0xffffff, v99
	v_sub_nc_u32_e32 v84, v47, v56
	v_cndmask_b32_e64 v47, 0, 1, vcc_lo
	v_add_co_ci_u32_e64 v84, null, 0, v84, vcc_lo
	v_lshrrev_b32_e32 v99, v47, v99
; %bb.453:                              ;   in Loop: Header=BB0_361 Depth=2
	s_andn2_saveexec_b32 s10, s10
; %bb.454:                              ;   in Loop: Header=BB0_361 Depth=2
	v_bfe_u32 v84, v99, 23, 1
; %bb.455:                              ;   in Loop: Header=BB0_361 Depth=2
	s_or_b32 exec_lo, exec_lo, s10
	v_lshrrev_b32_e32 v99, 21, v99
	v_min_i32_e32 v47, 31, v84
	v_cmp_gt_i32_e32 vcc_lo, 32, v84
	v_and_b32_sdwa v98, v98, v41 dst_sel:DWORD dst_unused:UNUSED_PAD src0_sel:BYTE_3 src1_sel:DWORD
	v_lshlrev_b32_e32 v47, 2, v47
	v_cndmask_b32_e32 v99, 3, v99, vcc_lo
	v_and_b32_e32 v47, 0xfc, v47
	v_and_b32_e32 v56, 3, v99
	v_or_b32_e32 v84, v84, v99
	v_or3_b32 v98, v47, v98, v56
	v_cmp_ne_u32_e32 vcc_lo, 0, v84
	v_cndmask_b32_e32 v84, 0, v98, vcc_lo
.LBB0_456:                              ;   in Loop: Header=BB0_361 Depth=2
	s_or_b32 exec_lo, exec_lo, s23
.LBB0_457:                              ;   in Loop: Header=BB0_361 Depth=2
	s_or_b32 exec_lo, exec_lo, s22
	v_cmp_gt_i16_sdwa s22, v20, v40 src0_sel:BYTE_1 src1_sel:DWORD
	s_mov_b32 s10, 0
	s_and_saveexec_b32 s23, s22
	s_xor_b32 s22, exec_lo, s23
	s_cbranch_execnz .LBB0_563
; %bb.458:                              ;   in Loop: Header=BB0_361 Depth=2
	s_or_saveexec_b32 s22, s22
	v_mov_b32_e32 v98, 0x7f800001
	s_xor_b32 exec_lo, exec_lo, s22
	s_cbranch_execnz .LBB0_566
.LBB0_459:                              ;   in Loop: Header=BB0_361 Depth=2
	s_or_b32 exec_lo, exec_lo, s22
	s_and_saveexec_b32 s22, s10
	s_cbranch_execz .LBB0_461
.LBB0_460:                              ;   in Loop: Header=BB0_361 Depth=2
	v_and_b32_sdwa v98, v42, v20 dst_sel:DWORD dst_unused:UNUSED_PAD src0_sel:DWORD src1_sel:BYTE_1
	v_and_b32_e32 v99, 3, v98
	v_bfe_u32 v57, v98, 2, 5
	v_ffbh_u32_e32 v47, v99
	v_cmp_eq_u32_e32 vcc_lo, 0, v57
	v_min_u32_e32 v47, 32, v47
	v_subrev_nc_u32_e32 v56, 29, v47
	v_sub_nc_u32_e32 v47, 30, v47
	v_lshlrev_b32_e32 v98, v56, v98
	v_lshlrev_b32_sdwa v56, v43, v20 dst_sel:DWORD dst_unused:UNUSED_PAD src0_sel:DWORD src1_sel:BYTE_1
	v_cndmask_b32_e32 v47, v57, v47, vcc_lo
	v_and_b32_e32 v98, 3, v98
	v_lshl_add_u32 v47, v47, 23, 0x37800000
	v_cndmask_b32_e32 v98, v99, v98, vcc_lo
	v_and_b32_e32 v99, 0x80000000, v56
	v_lshlrev_b32_e32 v98, 21, v98
	v_or3_b32 v98, v99, v47, v98
.LBB0_461:                              ;   in Loop: Header=BB0_361 Depth=2
	s_or_b32 exec_lo, exec_lo, s22
	v_cmp_gt_i16_sdwa s22, v83, v40 src0_sel:BYTE_1 src1_sel:DWORD
	s_mov_b32 s10, 0
	s_and_saveexec_b32 s23, s22
	s_xor_b32 s22, exec_lo, s23
	s_cbranch_execnz .LBB0_567
; %bb.462:                              ;   in Loop: Header=BB0_361 Depth=2
	s_or_saveexec_b32 s22, s22
	v_mov_b32_e32 v99, 0x7f800001
	s_xor_b32 exec_lo, exec_lo, s22
	s_cbranch_execnz .LBB0_570
.LBB0_463:                              ;   in Loop: Header=BB0_361 Depth=2
	s_or_b32 exec_lo, exec_lo, s22
	s_and_saveexec_b32 s22, s10
	s_cbranch_execz .LBB0_465
.LBB0_464:                              ;   in Loop: Header=BB0_361 Depth=2
	v_and_b32_sdwa v99, v42, v83 dst_sel:DWORD dst_unused:UNUSED_PAD src0_sel:DWORD src1_sel:BYTE_1
	v_and_b32_e32 v47, 3, v99
	v_bfe_u32 v58, v99, 2, 5
	v_ffbh_u32_e32 v56, v47
	v_cmp_eq_u32_e32 vcc_lo, 0, v58
	v_min_u32_e32 v56, 32, v56
	v_subrev_nc_u32_e32 v57, 29, v56
	v_sub_nc_u32_e32 v56, 30, v56
	v_lshlrev_b32_e32 v99, v57, v99
	v_lshlrev_b32_sdwa v57, v43, v83 dst_sel:DWORD dst_unused:UNUSED_PAD src0_sel:DWORD src1_sel:BYTE_1
	v_cndmask_b32_e32 v56, v58, v56, vcc_lo
	v_and_b32_e32 v99, 3, v99
	v_lshl_add_u32 v56, v56, 23, 0x37800000
	v_cndmask_b32_e32 v99, v47, v99, vcc_lo
	v_and_b32_e32 v47, 0x80000000, v57
	v_lshlrev_b32_e32 v99, 21, v99
	v_or3_b32 v99, v47, v56, v99
.LBB0_465:                              ;   in Loop: Header=BB0_361 Depth=2
	s_or_b32 exec_lo, exec_lo, s22
	v_mul_f32_e32 v99, v98, v99
	v_and_b32_e32 v98, 0x7f800000, v99
	v_cmp_ne_u32_e32 vcc_lo, 0x7f800000, v98
	v_mov_b32_e32 v98, 0x8000
	s_and_saveexec_b32 s22, vcc_lo
	s_cbranch_execz .LBB0_473
; %bb.466:                              ;   in Loop: Header=BB0_361 Depth=2
	v_mov_b32_e32 v98, 0
	s_mov_b32 s23, exec_lo
	v_cmpx_ne_u32_e32 0, v99
	s_cbranch_execz .LBB0_472
; %bb.467:                              ;   in Loop: Header=BB0_361 Depth=2
	v_bfe_u32 v98, v99, 23, 8
	v_and_b32_e32 v47, 0x7fffff, v99
	v_sub_nc_u32_e32 v56, 0x70, v98
	v_cmp_gt_u32_e32 vcc_lo, 0x71, v98
	v_or_b32_e32 v57, 0x800000, v47
	v_cndmask_b32_e32 v56, 0, v56, vcc_lo
	v_cmp_eq_u32_e32 vcc_lo, 0, v98
	v_add_nc_u32_e32 v98, 0xffffff91, v98
	v_cndmask_b32_e64 v56, v56, 0x6f, vcc_lo
	v_cndmask_b32_e32 v47, v57, v47, vcc_lo
	v_cndmask_b32_e64 v98, v98, 0xffffff92, vcc_lo
	v_lshl_add_u32 v57, 0x200000, v56, -1
	v_lshrrev_b32_e32 v58, v56, v47
	v_lshlrev_b32_e64 v60, v56, 0x100000
	v_add_nc_u32_e32 v56, v56, v98
	v_and_b32_e32 v47, v57, v47
	v_bfe_u32 v59, v58, 21, 1
	v_cmp_eq_u32_e64 s10, v47, v60
	v_add_nc_u32_e32 v57, -1, v59
	v_cndmask_b32_e64 v47, 0, v57, s10
	v_lshrrev_b32_e32 v57, 23, v58
	s_mov_b32 s10, exec_lo
	v_add_nc_u32_e32 v47, v47, v58
	v_xor_b32_e32 v57, 1, v57
	v_and_b32_e32 v98, 0x1fffff, v47
	v_add_nc_u32_e32 v47, v98, v58
                                        ; implicit-def: $vgpr98
	v_cmpx_ne_u32_e64 v56, v57
	s_xor_b32 s10, exec_lo, s10
; %bb.468:                              ;   in Loop: Header=BB0_361 Depth=2
	v_cmp_lt_u32_e32 vcc_lo, 0xffffff, v47
	v_sub_nc_u32_e32 v98, v56, v57
	v_cndmask_b32_e64 v56, 0, 1, vcc_lo
	v_add_co_ci_u32_e64 v98, null, 0, v98, vcc_lo
	v_lshrrev_b32_e32 v47, v56, v47
; %bb.469:                              ;   in Loop: Header=BB0_361 Depth=2
	s_andn2_saveexec_b32 s10, s10
; %bb.470:                              ;   in Loop: Header=BB0_361 Depth=2
	v_bfe_u32 v98, v47, 23, 1
; %bb.471:                              ;   in Loop: Header=BB0_361 Depth=2
	s_or_b32 exec_lo, exec_lo, s10
	v_lshrrev_b32_e32 v47, 21, v47
	v_min_i32_e32 v56, 31, v98
	v_cmp_gt_i32_e32 vcc_lo, 32, v98
	v_and_b32_sdwa v99, v99, v41 dst_sel:DWORD dst_unused:UNUSED_PAD src0_sel:BYTE_3 src1_sel:DWORD
	v_lshlrev_b32_e32 v56, 2, v56
	v_cndmask_b32_e32 v47, 3, v47, vcc_lo
	v_and_b32_e32 v56, 0xfc, v56
	v_and_b32_e32 v57, 3, v47
	v_or_b32_e32 v98, v98, v47
	v_or3_b32 v99, v99, v56, v57
	v_cmp_ne_u32_e32 vcc_lo, 0, v98
	v_lshlrev_b32_e32 v99, 8, v99
	v_cndmask_b32_e32 v98, 0, v99, vcc_lo
.LBB0_472:                              ;   in Loop: Header=BB0_361 Depth=2
	s_or_b32 exec_lo, exec_lo, s23
.LBB0_473:                              ;   in Loop: Header=BB0_361 Depth=2
	s_or_b32 exec_lo, exec_lo, s22
	v_and_b32_sdwa v47, v20, v44 dst_sel:DWORD dst_unused:UNUSED_PAD src0_sel:WORD_1 src1_sel:DWORD
	s_mov_b32 s10, 0
	s_mov_b32 s22, exec_lo
	v_cmpx_lt_i16_e32 0x7f, v47
	s_xor_b32 s22, exec_lo, s22
	s_cbranch_execnz .LBB0_571
; %bb.474:                              ;   in Loop: Header=BB0_361 Depth=2
	s_or_saveexec_b32 s22, s22
	v_mov_b32_e32 v99, 0x7f800001
	s_xor_b32 exec_lo, exec_lo, s22
	s_cbranch_execnz .LBB0_574
.LBB0_475:                              ;   in Loop: Header=BB0_361 Depth=2
	s_or_b32 exec_lo, exec_lo, s22
	s_and_saveexec_b32 s22, s10
	s_cbranch_execz .LBB0_477
.LBB0_476:                              ;   in Loop: Header=BB0_361 Depth=2
	v_bfe_u32 v99, v20, 16, 2
	v_bfe_u32 v57, v20, 18, 5
	v_lshlrev_b32_e32 v58, 8, v20
	v_ffbh_u32_e32 v47, v99
	v_cmp_eq_u32_e32 vcc_lo, 0, v57
	v_min_u32_e32 v47, 32, v47
	v_subrev_nc_u32_e32 v56, 29, v47
	v_sub_nc_u32_e32 v47, 30, v47
	v_lshlrev_b32_sdwa v56, v56, v20 dst_sel:DWORD dst_unused:UNUSED_PAD src0_sel:DWORD src1_sel:WORD_1
	v_cndmask_b32_e32 v47, v57, v47, vcc_lo
	v_and_b32_e32 v56, 3, v56
	v_lshl_add_u32 v47, v47, 23, 0x37800000
	v_cndmask_b32_e32 v99, v99, v56, vcc_lo
	v_and_b32_e32 v56, 0x80000000, v58
	v_lshlrev_b32_e32 v99, 21, v99
	v_or3_b32 v99, v56, v47, v99
.LBB0_477:                              ;   in Loop: Header=BB0_361 Depth=2
	s_or_b32 exec_lo, exec_lo, s22
	v_and_b32_sdwa v56, v83, v44 dst_sel:DWORD dst_unused:UNUSED_PAD src0_sel:WORD_1 src1_sel:DWORD
	s_mov_b32 s10, 0
	s_mov_b32 s22, exec_lo
	v_cmpx_lt_i16_e32 0x7f, v56
	s_xor_b32 s22, exec_lo, s22
	s_cbranch_execnz .LBB0_575
; %bb.478:                              ;   in Loop: Header=BB0_361 Depth=2
	s_or_saveexec_b32 s22, s22
	v_mov_b32_e32 v47, 0x7f800001
	s_xor_b32 exec_lo, exec_lo, s22
	s_cbranch_execnz .LBB0_578
.LBB0_479:                              ;   in Loop: Header=BB0_361 Depth=2
	s_or_b32 exec_lo, exec_lo, s22
	s_and_saveexec_b32 s22, s10
	s_cbranch_execz .LBB0_481
.LBB0_480:                              ;   in Loop: Header=BB0_361 Depth=2
	v_bfe_u32 v47, v83, 16, 2
	v_bfe_u32 v58, v83, 18, 5
	v_lshlrev_b32_e32 v59, 8, v83
	v_ffbh_u32_e32 v56, v47
	v_cmp_eq_u32_e32 vcc_lo, 0, v58
	v_min_u32_e32 v56, 32, v56
	v_subrev_nc_u32_e32 v57, 29, v56
	v_sub_nc_u32_e32 v56, 30, v56
	v_lshlrev_b32_sdwa v57, v57, v83 dst_sel:DWORD dst_unused:UNUSED_PAD src0_sel:DWORD src1_sel:WORD_1
	v_cndmask_b32_e32 v56, v58, v56, vcc_lo
	v_and_b32_e32 v57, 3, v57
	v_lshl_add_u32 v56, v56, 23, 0x37800000
	v_cndmask_b32_e32 v47, v47, v57, vcc_lo
	v_and_b32_e32 v57, 0x80000000, v59
	v_lshlrev_b32_e32 v47, 21, v47
	v_or3_b32 v47, v57, v56, v47
.LBB0_481:                              ;   in Loop: Header=BB0_361 Depth=2
	s_or_b32 exec_lo, exec_lo, s22
	v_mul_f32_e32 v47, v99, v47
	v_and_b32_e32 v99, 0x7f800000, v47
	v_cmp_ne_u32_e32 vcc_lo, 0x7f800000, v99
	v_mov_b32_e32 v99, 0x80
	s_and_saveexec_b32 s22, vcc_lo
	s_cbranch_execz .LBB0_489
; %bb.482:                              ;   in Loop: Header=BB0_361 Depth=2
	v_mov_b32_e32 v99, 0
	s_mov_b32 s23, exec_lo
	v_cmpx_ne_u32_e32 0, v47
	s_cbranch_execz .LBB0_488
; %bb.483:                              ;   in Loop: Header=BB0_361 Depth=2
	v_bfe_u32 v99, v47, 23, 8
	v_and_b32_e32 v56, 0x7fffff, v47
	v_sub_nc_u32_e32 v57, 0x70, v99
	v_cmp_gt_u32_e32 vcc_lo, 0x71, v99
	v_or_b32_e32 v58, 0x800000, v56
	v_cndmask_b32_e32 v57, 0, v57, vcc_lo
	v_cmp_eq_u32_e32 vcc_lo, 0, v99
	v_add_nc_u32_e32 v99, 0xffffff91, v99
	v_cndmask_b32_e64 v57, v57, 0x6f, vcc_lo
	v_cndmask_b32_e32 v56, v58, v56, vcc_lo
	v_cndmask_b32_e64 v99, v99, 0xffffff92, vcc_lo
	v_lshl_add_u32 v58, 0x200000, v57, -1
	v_lshrrev_b32_e32 v59, v57, v56
	v_lshlrev_b32_e64 v61, v57, 0x100000
	v_add_nc_u32_e32 v57, v57, v99
	v_and_b32_e32 v56, v58, v56
	v_bfe_u32 v60, v59, 21, 1
	v_cmp_eq_u32_e64 s10, v56, v61
	v_add_nc_u32_e32 v58, -1, v60
	v_cndmask_b32_e64 v56, 0, v58, s10
	v_lshrrev_b32_e32 v58, 23, v59
	s_mov_b32 s10, exec_lo
	v_add_nc_u32_e32 v56, v56, v59
	v_xor_b32_e32 v58, 1, v58
	v_and_b32_e32 v99, 0x1fffff, v56
	v_add_nc_u32_e32 v56, v99, v59
                                        ; implicit-def: $vgpr99
	v_cmpx_ne_u32_e64 v57, v58
	s_xor_b32 s10, exec_lo, s10
; %bb.484:                              ;   in Loop: Header=BB0_361 Depth=2
	v_cmp_lt_u32_e32 vcc_lo, 0xffffff, v56
	v_sub_nc_u32_e32 v99, v57, v58
	v_cndmask_b32_e64 v57, 0, 1, vcc_lo
	v_add_co_ci_u32_e64 v99, null, 0, v99, vcc_lo
	v_lshrrev_b32_e32 v56, v57, v56
; %bb.485:                              ;   in Loop: Header=BB0_361 Depth=2
	s_andn2_saveexec_b32 s10, s10
; %bb.486:                              ;   in Loop: Header=BB0_361 Depth=2
	v_bfe_u32 v99, v56, 23, 1
; %bb.487:                              ;   in Loop: Header=BB0_361 Depth=2
	s_or_b32 exec_lo, exec_lo, s10
	v_lshrrev_b32_e32 v56, 21, v56
	v_min_i32_e32 v57, 31, v99
	v_cmp_gt_i32_e32 vcc_lo, 32, v99
	v_and_b32_sdwa v47, v47, v41 dst_sel:DWORD dst_unused:UNUSED_PAD src0_sel:BYTE_3 src1_sel:DWORD
	v_lshlrev_b32_e32 v57, 2, v57
	v_cndmask_b32_e32 v56, 3, v56, vcc_lo
	v_and_b32_e32 v57, 0xfc, v57
	v_and_b32_e32 v58, 3, v56
	v_or_b32_e32 v99, v99, v56
	v_or3_b32 v47, v57, v47, v58
	v_cmp_ne_u32_e32 vcc_lo, 0, v99
	v_cndmask_b32_e32 v99, 0, v47, vcc_lo
.LBB0_488:                              ;   in Loop: Header=BB0_361 Depth=2
	s_or_b32 exec_lo, exec_lo, s23
.LBB0_489:                              ;   in Loop: Header=BB0_361 Depth=2
	s_or_b32 exec_lo, exec_lo, s22
	v_cmp_gt_i16_sdwa s22, v20, v40 src0_sel:BYTE_3 src1_sel:DWORD
	s_mov_b32 s10, 0
	s_and_saveexec_b32 s23, s22
	s_xor_b32 s22, exec_lo, s23
	s_cbranch_execnz .LBB0_579
; %bb.490:                              ;   in Loop: Header=BB0_361 Depth=2
	s_or_saveexec_b32 s22, s22
	v_mov_b32_e32 v47, 0x7f800001
	s_xor_b32 exec_lo, exec_lo, s22
	s_cbranch_execnz .LBB0_582
.LBB0_491:                              ;   in Loop: Header=BB0_361 Depth=2
	s_or_b32 exec_lo, exec_lo, s22
	s_and_saveexec_b32 s22, s10
	s_cbranch_execz .LBB0_493
.LBB0_492:                              ;   in Loop: Header=BB0_361 Depth=2
	v_bfe_u32 v47, v20, 24, 2
	v_bfe_u32 v58, v20, 26, 5
	v_ffbh_u32_e32 v56, v47
	v_cmp_eq_u32_e32 vcc_lo, 0, v58
	v_min_u32_e32 v56, 32, v56
	v_subrev_nc_u32_e32 v57, 29, v56
	v_sub_nc_u32_e32 v56, 30, v56
	v_lshlrev_b32_sdwa v57, v57, v20 dst_sel:DWORD dst_unused:UNUSED_PAD src0_sel:DWORD src1_sel:BYTE_3
	v_cndmask_b32_e32 v56, v58, v56, vcc_lo
	v_and_b32_e32 v20, 0x80000000, v20
	v_and_b32_e32 v57, 3, v57
	v_lshl_add_u32 v56, v56, 23, 0x37800000
	v_cndmask_b32_e32 v47, v47, v57, vcc_lo
	v_lshlrev_b32_e32 v47, 21, v47
	v_or3_b32 v47, v20, v56, v47
.LBB0_493:                              ;   in Loop: Header=BB0_361 Depth=2
	s_or_b32 exec_lo, exec_lo, s22
	v_cmp_gt_i16_sdwa s22, v83, v40 src0_sel:BYTE_3 src1_sel:DWORD
	s_mov_b32 s10, 0
	s_and_saveexec_b32 s23, s22
	s_xor_b32 s22, exec_lo, s23
	s_cbranch_execnz .LBB0_583
; %bb.494:                              ;   in Loop: Header=BB0_361 Depth=2
	s_or_saveexec_b32 s22, s22
	v_mov_b32_e32 v20, 0x7f800001
	s_xor_b32 exec_lo, exec_lo, s22
	s_cbranch_execnz .LBB0_586
.LBB0_495:                              ;   in Loop: Header=BB0_361 Depth=2
	s_or_b32 exec_lo, exec_lo, s22
	s_and_saveexec_b32 s22, s10
	s_cbranch_execz .LBB0_497
.LBB0_496:                              ;   in Loop: Header=BB0_361 Depth=2
	v_bfe_u32 v20, v83, 24, 2
	v_bfe_u32 v58, v83, 26, 5
	v_ffbh_u32_e32 v56, v20
	v_cmp_eq_u32_e32 vcc_lo, 0, v58
	v_min_u32_e32 v56, 32, v56
	v_subrev_nc_u32_e32 v57, 29, v56
	v_sub_nc_u32_e32 v56, 30, v56
	v_lshlrev_b32_sdwa v57, v57, v83 dst_sel:DWORD dst_unused:UNUSED_PAD src0_sel:DWORD src1_sel:BYTE_3
	v_cndmask_b32_e32 v56, v58, v56, vcc_lo
	v_and_b32_e32 v83, 0x80000000, v83
	v_and_b32_e32 v57, 3, v57
	v_lshl_add_u32 v56, v56, 23, 0x37800000
	v_cndmask_b32_e32 v20, v20, v57, vcc_lo
	v_lshlrev_b32_e32 v20, 21, v20
	v_or3_b32 v20, v83, v56, v20
.LBB0_497:                              ;   in Loop: Header=BB0_361 Depth=2
	s_or_b32 exec_lo, exec_lo, s22
	v_mul_f32_e32 v20, v47, v20
	v_and_b32_e32 v83, 0x7f800000, v20
	v_cmp_ne_u32_e32 vcc_lo, 0x7f800000, v83
	v_mov_b32_e32 v83, 0x8000
	s_and_saveexec_b32 s22, vcc_lo
	s_cbranch_execz .LBB0_505
; %bb.498:                              ;   in Loop: Header=BB0_361 Depth=2
	v_mov_b32_e32 v83, 0
	s_mov_b32 s23, exec_lo
	v_cmpx_ne_u32_e32 0, v20
	s_cbranch_execz .LBB0_504
; %bb.499:                              ;   in Loop: Header=BB0_361 Depth=2
	v_bfe_u32 v83, v20, 23, 8
	v_and_b32_e32 v47, 0x7fffff, v20
	v_sub_nc_u32_e32 v56, 0x70, v83
	v_cmp_gt_u32_e32 vcc_lo, 0x71, v83
	v_or_b32_e32 v57, 0x800000, v47
	v_cndmask_b32_e32 v56, 0, v56, vcc_lo
	v_cmp_eq_u32_e32 vcc_lo, 0, v83
	v_add_nc_u32_e32 v83, 0xffffff91, v83
	v_cndmask_b32_e64 v56, v56, 0x6f, vcc_lo
	v_cndmask_b32_e32 v47, v57, v47, vcc_lo
	v_cndmask_b32_e64 v83, v83, 0xffffff92, vcc_lo
	v_lshl_add_u32 v57, 0x200000, v56, -1
	v_lshrrev_b32_e32 v58, v56, v47
	v_lshlrev_b32_e64 v60, v56, 0x100000
	v_add_nc_u32_e32 v56, v56, v83
	v_and_b32_e32 v47, v57, v47
	v_bfe_u32 v59, v58, 21, 1
	v_cmp_eq_u32_e64 s10, v47, v60
	v_add_nc_u32_e32 v57, -1, v59
	v_cndmask_b32_e64 v47, 0, v57, s10
	v_lshrrev_b32_e32 v57, 23, v58
	s_mov_b32 s10, exec_lo
	v_add_nc_u32_e32 v47, v47, v58
	v_xor_b32_e32 v57, 1, v57
	v_and_b32_e32 v83, 0x1fffff, v47
	v_add_nc_u32_e32 v47, v83, v58
                                        ; implicit-def: $vgpr83
	v_cmpx_ne_u32_e64 v56, v57
	s_xor_b32 s10, exec_lo, s10
; %bb.500:                              ;   in Loop: Header=BB0_361 Depth=2
	v_cmp_lt_u32_e32 vcc_lo, 0xffffff, v47
	v_sub_nc_u32_e32 v83, v56, v57
	v_cndmask_b32_e64 v56, 0, 1, vcc_lo
	v_add_co_ci_u32_e64 v83, null, 0, v83, vcc_lo
	v_lshrrev_b32_e32 v47, v56, v47
; %bb.501:                              ;   in Loop: Header=BB0_361 Depth=2
	s_andn2_saveexec_b32 s10, s10
; %bb.502:                              ;   in Loop: Header=BB0_361 Depth=2
	v_bfe_u32 v83, v47, 23, 1
; %bb.503:                              ;   in Loop: Header=BB0_361 Depth=2
	s_or_b32 exec_lo, exec_lo, s10
	v_lshrrev_b32_e32 v47, 21, v47
	v_min_i32_e32 v56, 31, v83
	v_cmp_gt_i32_e32 vcc_lo, 32, v83
	v_and_b32_sdwa v20, v20, v41 dst_sel:DWORD dst_unused:UNUSED_PAD src0_sel:BYTE_3 src1_sel:DWORD
	v_lshlrev_b32_e32 v56, 2, v56
	v_cndmask_b32_e32 v47, 3, v47, vcc_lo
	v_and_b32_e32 v56, 0xfc, v56
	v_and_b32_e32 v57, 3, v47
	v_or_b32_e32 v83, v83, v47
	v_or3_b32 v20, v20, v56, v57
	v_cmp_ne_u32_e32 vcc_lo, 0, v83
	v_lshlrev_b32_e32 v20, 8, v20
	v_cndmask_b32_e32 v83, 0, v20, vcc_lo
.LBB0_504:                              ;   in Loop: Header=BB0_361 Depth=2
	s_or_b32 exec_lo, exec_lo, s23
.LBB0_505:                              ;   in Loop: Header=BB0_361 Depth=2
	s_or_b32 exec_lo, exec_lo, s22
	v_or_b32_e32 v21, v21, v19
	v_or_b32_e32 v18, v18, v54
	;; [unrolled: 1-line block ×4, first 2 shown]
	v_cmp_lt_u32_e32 vcc_lo, 7, v46
	s_mov_b32 s10, -1
	v_lshl_or_b32 v18, v18, 16, v21
	v_lshl_or_b32 v19, v19, 16, v20
	s_cmp_lg_u32 vcc_lo, exec_lo
	s_cbranch_scc0 .LBB0_521
; %bb.506:                              ;   in Loop: Header=BB0_361 Depth=2
	s_mov_b32 s22, exec_lo
	flat_store_byte v[80:81], v21
	v_cmpx_ne_u32_e32 1, v46
	s_cbranch_execz .LBB0_508
; %bb.507:                              ;   in Loop: Header=BB0_361 Depth=2
	v_lshrrev_b32_e32 v21, 8, v21
	flat_store_byte v[80:81], v21 offset:1
.LBB0_508:                              ;   in Loop: Header=BB0_361 Depth=2
	s_or_b32 exec_lo, exec_lo, s22
	s_mov_b32 s22, exec_lo
	v_cmpx_lt_u32_e32 2, v46
	s_cbranch_execz .LBB0_510
; %bb.509:                              ;   in Loop: Header=BB0_361 Depth=2
	flat_store_byte_d16_hi v[80:81], v18 offset:2
.LBB0_510:                              ;   in Loop: Header=BB0_361 Depth=2
	s_or_b32 exec_lo, exec_lo, s22
	s_mov_b32 s22, exec_lo
	v_cmpx_lt_u32_e32 3, v46
	s_cbranch_execz .LBB0_512
; %bb.511:                              ;   in Loop: Header=BB0_361 Depth=2
	v_lshrrev_b32_e32 v21, 24, v18
	flat_store_byte v[80:81], v21 offset:3
.LBB0_512:                              ;   in Loop: Header=BB0_361 Depth=2
	s_or_b32 exec_lo, exec_lo, s22
	s_mov_b32 s22, exec_lo
	v_cmpx_lt_u32_e32 4, v46
	s_cbranch_execz .LBB0_514
; %bb.513:                              ;   in Loop: Header=BB0_361 Depth=2
	flat_store_byte v[80:81], v20 offset:4
.LBB0_514:                              ;   in Loop: Header=BB0_361 Depth=2
	s_or_b32 exec_lo, exec_lo, s22
	s_mov_b32 s22, exec_lo
	v_cmpx_lt_u32_e32 5, v46
	s_cbranch_execz .LBB0_516
; %bb.515:                              ;   in Loop: Header=BB0_361 Depth=2
	v_lshrrev_b32_e32 v20, 8, v20
	flat_store_byte v[80:81], v20 offset:5
.LBB0_516:                              ;   in Loop: Header=BB0_361 Depth=2
	s_or_b32 exec_lo, exec_lo, s22
	s_mov_b32 s22, exec_lo
	v_cmpx_lt_u32_e32 6, v46
	s_cbranch_execz .LBB0_518
; %bb.517:                              ;   in Loop: Header=BB0_361 Depth=2
	flat_store_byte_d16_hi v[80:81], v19 offset:6
.LBB0_518:                              ;   in Loop: Header=BB0_361 Depth=2
	s_or_b32 exec_lo, exec_lo, s22
	s_and_saveexec_b32 s10, vcc_lo
	s_cbranch_execz .LBB0_520
; %bb.519:                              ;   in Loop: Header=BB0_361 Depth=2
	v_lshrrev_b32_e32 v20, 24, v19
	flat_store_byte v[80:81], v20 offset:7
.LBB0_520:                              ;   in Loop: Header=BB0_361 Depth=2
	s_or_b32 exec_lo, exec_lo, s10
	s_mov_b32 s10, 0
.LBB0_521:                              ;   in Loop: Header=BB0_361 Depth=2
	s_and_b32 vcc_lo, exec_lo, s10
	s_cbranch_vccz .LBB0_360
; %bb.522:                              ;   in Loop: Header=BB0_361 Depth=2
	global_store_dwordx2 v[80:81], v[18:19], off
	s_branch .LBB0_360
.LBB0_523:                              ;   in Loop: Header=BB0_361 Depth=2
	v_cmp_eq_u16_sdwa s24, v18, v41 src0_sel:BYTE_0 src1_sel:DWORD
	s_mov_b32 s10, -1
	s_and_saveexec_b32 s23, s24
; %bb.524:                              ;   in Loop: Header=BB0_361 Depth=2
	s_xor_b32 s10, exec_lo, -1
; %bb.525:                              ;   in Loop: Header=BB0_361 Depth=2
	s_or_b32 exec_lo, exec_lo, s23
	s_and_b32 s10, s10, exec_lo
	s_or_saveexec_b32 s22, s22
	v_mov_b32_e32 v19, 0x7f800001
	s_xor_b32 exec_lo, exec_lo, s22
	s_cbranch_execz .LBB0_379
.LBB0_526:                              ;   in Loop: Header=BB0_361 Depth=2
	v_cmp_ne_u16_sdwa s23, v18, v55 src0_sel:BYTE_0 src1_sel:DWORD
	v_mov_b32_e32 v19, 0
	s_andn2_b32 s10, s10, exec_lo
	s_and_b32 s23, s23, exec_lo
	s_or_b32 s10, s10, s23
	s_or_b32 exec_lo, exec_lo, s22
	s_and_saveexec_b32 s22, s10
	s_cbranch_execnz .LBB0_380
	s_branch .LBB0_381
.LBB0_527:                              ;   in Loop: Header=BB0_361 Depth=2
	v_cmp_eq_u16_sdwa s24, v84, v41 src0_sel:BYTE_0 src1_sel:DWORD
	s_mov_b32 s10, -1
	s_and_saveexec_b32 s23, s24
; %bb.528:                              ;   in Loop: Header=BB0_361 Depth=2
	s_xor_b32 s10, exec_lo, -1
; %bb.529:                              ;   in Loop: Header=BB0_361 Depth=2
	s_or_b32 exec_lo, exec_lo, s23
	s_and_b32 s10, s10, exec_lo
	s_or_saveexec_b32 s22, s22
	v_mov_b32_e32 v21, 0x7f800001
	s_xor_b32 exec_lo, exec_lo, s22
	s_cbranch_execz .LBB0_383
.LBB0_530:                              ;   in Loop: Header=BB0_361 Depth=2
	v_cmp_ne_u16_sdwa s23, v84, v55 src0_sel:BYTE_0 src1_sel:DWORD
	v_mov_b32_e32 v21, 0
	s_andn2_b32 s10, s10, exec_lo
	s_and_b32 s23, s23, exec_lo
	s_or_b32 s10, s10, s23
	s_or_b32 exec_lo, exec_lo, s22
	s_and_saveexec_b32 s22, s10
	s_cbranch_execnz .LBB0_384
	s_branch .LBB0_385
.LBB0_531:                              ;   in Loop: Header=BB0_361 Depth=2
	v_cmp_eq_u16_sdwa s24, v18, v41 src0_sel:BYTE_1 src1_sel:DWORD
	s_mov_b32 s10, -1
	s_and_saveexec_b32 s23, s24
; %bb.532:                              ;   in Loop: Header=BB0_361 Depth=2
	s_xor_b32 s10, exec_lo, -1
; %bb.533:                              ;   in Loop: Header=BB0_361 Depth=2
	s_or_b32 exec_lo, exec_lo, s23
	s_and_b32 s10, s10, exec_lo
	s_or_saveexec_b32 s22, s22
	v_mov_b32_e32 v21, 0x7f800001
	s_xor_b32 exec_lo, exec_lo, s22
	s_cbranch_execz .LBB0_395
.LBB0_534:                              ;   in Loop: Header=BB0_361 Depth=2
	v_cmp_ne_u16_sdwa s23, v18, v55 src0_sel:BYTE_1 src1_sel:DWORD
	v_mov_b32_e32 v21, 0
	s_andn2_b32 s10, s10, exec_lo
	s_and_b32 s23, s23, exec_lo
	s_or_b32 s10, s10, s23
	s_or_b32 exec_lo, exec_lo, s22
	s_and_saveexec_b32 s22, s10
	s_cbranch_execnz .LBB0_396
	s_branch .LBB0_397
.LBB0_535:                              ;   in Loop: Header=BB0_361 Depth=2
	v_cmp_eq_u16_sdwa s24, v84, v41 src0_sel:BYTE_1 src1_sel:DWORD
	s_mov_b32 s10, -1
	s_and_saveexec_b32 s23, s24
; %bb.536:                              ;   in Loop: Header=BB0_361 Depth=2
	s_xor_b32 s10, exec_lo, -1
; %bb.537:                              ;   in Loop: Header=BB0_361 Depth=2
	s_or_b32 exec_lo, exec_lo, s23
	s_and_b32 s10, s10, exec_lo
	s_or_saveexec_b32 s22, s22
	v_mov_b32_e32 v54, 0x7f800001
	s_xor_b32 exec_lo, exec_lo, s22
	s_cbranch_execz .LBB0_399
.LBB0_538:                              ;   in Loop: Header=BB0_361 Depth=2
	v_cmp_ne_u16_sdwa s23, v84, v55 src0_sel:BYTE_1 src1_sel:DWORD
	v_mov_b32_e32 v54, 0
	s_andn2_b32 s10, s10, exec_lo
	s_and_b32 s23, s23, exec_lo
	s_or_b32 s10, s10, s23
	s_or_b32 exec_lo, exec_lo, s22
	s_and_saveexec_b32 s22, s10
	s_cbranch_execnz .LBB0_400
	s_branch .LBB0_401
.LBB0_539:                              ;   in Loop: Header=BB0_361 Depth=2
	s_mov_b32 s10, -1
	s_mov_b32 s23, exec_lo
	v_cmpx_eq_u16_e32 0x80, v47
; %bb.540:                              ;   in Loop: Header=BB0_361 Depth=2
	s_xor_b32 s10, exec_lo, -1
; %bb.541:                              ;   in Loop: Header=BB0_361 Depth=2
	s_or_b32 exec_lo, exec_lo, s23
	s_and_b32 s10, s10, exec_lo
                                        ; implicit-def: $vgpr47
	s_or_saveexec_b32 s22, s22
	v_mov_b32_e32 v54, 0x7f800001
	s_xor_b32 exec_lo, exec_lo, s22
	s_cbranch_execz .LBB0_411
.LBB0_542:                              ;   in Loop: Header=BB0_361 Depth=2
	v_cmp_ne_u16_e32 vcc_lo, 0, v47
	v_mov_b32_e32 v54, 0
	s_andn2_b32 s10, s10, exec_lo
	s_and_b32 s23, vcc_lo, exec_lo
	s_or_b32 s10, s10, s23
	s_or_b32 exec_lo, exec_lo, s22
	s_and_saveexec_b32 s22, s10
	s_cbranch_execnz .LBB0_412
	s_branch .LBB0_413
.LBB0_543:                              ;   in Loop: Header=BB0_361 Depth=2
	s_mov_b32 s10, -1
	s_mov_b32 s23, exec_lo
	v_cmpx_eq_u16_e32 0x80, v56
; %bb.544:                              ;   in Loop: Header=BB0_361 Depth=2
	s_xor_b32 s10, exec_lo, -1
; %bb.545:                              ;   in Loop: Header=BB0_361 Depth=2
	s_or_b32 exec_lo, exec_lo, s23
	s_and_b32 s10, s10, exec_lo
                                        ; implicit-def: $vgpr56
	s_or_saveexec_b32 s22, s22
	v_mov_b32_e32 v47, 0x7f800001
	s_xor_b32 exec_lo, exec_lo, s22
	s_cbranch_execz .LBB0_415
.LBB0_546:                              ;   in Loop: Header=BB0_361 Depth=2
	v_cmp_ne_u16_e32 vcc_lo, 0, v56
	v_mov_b32_e32 v47, 0
	s_andn2_b32 s10, s10, exec_lo
	s_and_b32 s23, vcc_lo, exec_lo
	s_or_b32 s10, s10, s23
	s_or_b32 exec_lo, exec_lo, s22
	s_and_saveexec_b32 s22, s10
	s_cbranch_execnz .LBB0_416
	s_branch .LBB0_417
.LBB0_547:                              ;   in Loop: Header=BB0_361 Depth=2
	v_cmp_eq_u16_sdwa s24, v18, v41 src0_sel:BYTE_3 src1_sel:DWORD
	s_mov_b32 s10, -1
	s_and_saveexec_b32 s23, s24
; %bb.548:                              ;   in Loop: Header=BB0_361 Depth=2
	s_xor_b32 s10, exec_lo, -1
; %bb.549:                              ;   in Loop: Header=BB0_361 Depth=2
	s_or_b32 exec_lo, exec_lo, s23
	s_and_b32 s10, s10, exec_lo
	s_or_saveexec_b32 s22, s22
	v_mov_b32_e32 v47, 0x7f800001
	s_xor_b32 exec_lo, exec_lo, s22
	s_cbranch_execz .LBB0_427
.LBB0_550:                              ;   in Loop: Header=BB0_361 Depth=2
	v_cmp_ne_u16_sdwa s23, v18, v55 src0_sel:BYTE_3 src1_sel:DWORD
	v_mov_b32_e32 v47, 0
	s_andn2_b32 s10, s10, exec_lo
	s_and_b32 s23, s23, exec_lo
	s_or_b32 s10, s10, s23
	s_or_b32 exec_lo, exec_lo, s22
	s_and_saveexec_b32 s22, s10
	s_cbranch_execnz .LBB0_428
	s_branch .LBB0_429
.LBB0_551:                              ;   in Loop: Header=BB0_361 Depth=2
	v_cmp_eq_u16_sdwa s24, v84, v41 src0_sel:BYTE_3 src1_sel:DWORD
	s_mov_b32 s10, -1
	s_and_saveexec_b32 s23, s24
; %bb.552:                              ;   in Loop: Header=BB0_361 Depth=2
	s_xor_b32 s10, exec_lo, -1
; %bb.553:                              ;   in Loop: Header=BB0_361 Depth=2
	s_or_b32 exec_lo, exec_lo, s23
	s_and_b32 s10, s10, exec_lo
	s_or_saveexec_b32 s22, s22
	v_mov_b32_e32 v18, 0x7f800001
	s_xor_b32 exec_lo, exec_lo, s22
	s_cbranch_execz .LBB0_431
.LBB0_554:                              ;   in Loop: Header=BB0_361 Depth=2
	v_cmp_ne_u16_sdwa s23, v84, v55 src0_sel:BYTE_3 src1_sel:DWORD
	v_mov_b32_e32 v18, 0
	s_andn2_b32 s10, s10, exec_lo
	s_and_b32 s23, s23, exec_lo
	s_or_b32 s10, s10, s23
	s_or_b32 exec_lo, exec_lo, s22
	s_and_saveexec_b32 s22, s10
	s_cbranch_execnz .LBB0_432
	s_branch .LBB0_433
.LBB0_555:                              ;   in Loop: Header=BB0_361 Depth=2
	v_cmp_eq_u16_sdwa s24, v20, v41 src0_sel:BYTE_0 src1_sel:DWORD
	s_mov_b32 s10, -1
	s_and_saveexec_b32 s23, s24
; %bb.556:                              ;   in Loop: Header=BB0_361 Depth=2
	s_xor_b32 s10, exec_lo, -1
; %bb.557:                              ;   in Loop: Header=BB0_361 Depth=2
	s_or_b32 exec_lo, exec_lo, s23
	s_and_b32 s10, s10, exec_lo
	s_or_saveexec_b32 s22, s22
	v_mov_b32_e32 v84, 0x7f800001
	s_xor_b32 exec_lo, exec_lo, s22
	s_cbranch_execz .LBB0_443
.LBB0_558:                              ;   in Loop: Header=BB0_361 Depth=2
	v_cmp_ne_u16_sdwa s23, v20, v55 src0_sel:BYTE_0 src1_sel:DWORD
	v_mov_b32_e32 v84, 0
	s_andn2_b32 s10, s10, exec_lo
	s_and_b32 s23, s23, exec_lo
	s_or_b32 s10, s10, s23
	s_or_b32 exec_lo, exec_lo, s22
	s_and_saveexec_b32 s22, s10
	s_cbranch_execnz .LBB0_444
	s_branch .LBB0_445
.LBB0_559:                              ;   in Loop: Header=BB0_361 Depth=2
	v_cmp_eq_u16_sdwa s24, v83, v41 src0_sel:BYTE_0 src1_sel:DWORD
	s_mov_b32 s10, -1
	s_and_saveexec_b32 s23, s24
; %bb.560:                              ;   in Loop: Header=BB0_361 Depth=2
	s_xor_b32 s10, exec_lo, -1
; %bb.561:                              ;   in Loop: Header=BB0_361 Depth=2
	s_or_b32 exec_lo, exec_lo, s23
	s_and_b32 s10, s10, exec_lo
	s_or_saveexec_b32 s22, s22
	v_mov_b32_e32 v98, 0x7f800001
	s_xor_b32 exec_lo, exec_lo, s22
	s_cbranch_execz .LBB0_447
.LBB0_562:                              ;   in Loop: Header=BB0_361 Depth=2
	v_cmp_ne_u16_sdwa s23, v83, v55 src0_sel:BYTE_0 src1_sel:DWORD
	v_mov_b32_e32 v98, 0
	s_andn2_b32 s10, s10, exec_lo
	s_and_b32 s23, s23, exec_lo
	s_or_b32 s10, s10, s23
	s_or_b32 exec_lo, exec_lo, s22
	s_and_saveexec_b32 s22, s10
	s_cbranch_execnz .LBB0_448
	s_branch .LBB0_449
.LBB0_563:                              ;   in Loop: Header=BB0_361 Depth=2
	v_cmp_eq_u16_sdwa s24, v20, v41 src0_sel:BYTE_1 src1_sel:DWORD
	s_mov_b32 s10, -1
	s_and_saveexec_b32 s23, s24
; %bb.564:                              ;   in Loop: Header=BB0_361 Depth=2
	s_xor_b32 s10, exec_lo, -1
; %bb.565:                              ;   in Loop: Header=BB0_361 Depth=2
	s_or_b32 exec_lo, exec_lo, s23
	s_and_b32 s10, s10, exec_lo
	s_or_saveexec_b32 s22, s22
	v_mov_b32_e32 v98, 0x7f800001
	s_xor_b32 exec_lo, exec_lo, s22
	s_cbranch_execz .LBB0_459
.LBB0_566:                              ;   in Loop: Header=BB0_361 Depth=2
	v_cmp_ne_u16_sdwa s23, v20, v55 src0_sel:BYTE_1 src1_sel:DWORD
	v_mov_b32_e32 v98, 0
	s_andn2_b32 s10, s10, exec_lo
	s_and_b32 s23, s23, exec_lo
	s_or_b32 s10, s10, s23
	s_or_b32 exec_lo, exec_lo, s22
	s_and_saveexec_b32 s22, s10
	s_cbranch_execnz .LBB0_460
	s_branch .LBB0_461
.LBB0_567:                              ;   in Loop: Header=BB0_361 Depth=2
	v_cmp_eq_u16_sdwa s24, v83, v41 src0_sel:BYTE_1 src1_sel:DWORD
	s_mov_b32 s10, -1
	s_and_saveexec_b32 s23, s24
; %bb.568:                              ;   in Loop: Header=BB0_361 Depth=2
	s_xor_b32 s10, exec_lo, -1
; %bb.569:                              ;   in Loop: Header=BB0_361 Depth=2
	s_or_b32 exec_lo, exec_lo, s23
	s_and_b32 s10, s10, exec_lo
	s_or_saveexec_b32 s22, s22
	v_mov_b32_e32 v99, 0x7f800001
	s_xor_b32 exec_lo, exec_lo, s22
	s_cbranch_execz .LBB0_463
.LBB0_570:                              ;   in Loop: Header=BB0_361 Depth=2
	v_cmp_ne_u16_sdwa s23, v83, v55 src0_sel:BYTE_1 src1_sel:DWORD
	v_mov_b32_e32 v99, 0
	s_andn2_b32 s10, s10, exec_lo
	s_and_b32 s23, s23, exec_lo
	s_or_b32 s10, s10, s23
	s_or_b32 exec_lo, exec_lo, s22
	s_and_saveexec_b32 s22, s10
	s_cbranch_execnz .LBB0_464
	s_branch .LBB0_465
.LBB0_571:                              ;   in Loop: Header=BB0_361 Depth=2
	s_mov_b32 s10, -1
	s_mov_b32 s23, exec_lo
	v_cmpx_eq_u16_e32 0x80, v47
; %bb.572:                              ;   in Loop: Header=BB0_361 Depth=2
	s_xor_b32 s10, exec_lo, -1
; %bb.573:                              ;   in Loop: Header=BB0_361 Depth=2
	s_or_b32 exec_lo, exec_lo, s23
	s_and_b32 s10, s10, exec_lo
                                        ; implicit-def: $vgpr47
	s_or_saveexec_b32 s22, s22
	v_mov_b32_e32 v99, 0x7f800001
	s_xor_b32 exec_lo, exec_lo, s22
	s_cbranch_execz .LBB0_475
.LBB0_574:                              ;   in Loop: Header=BB0_361 Depth=2
	v_cmp_ne_u16_e32 vcc_lo, 0, v47
	v_mov_b32_e32 v99, 0
	s_andn2_b32 s10, s10, exec_lo
	s_and_b32 s23, vcc_lo, exec_lo
	s_or_b32 s10, s10, s23
	s_or_b32 exec_lo, exec_lo, s22
	s_and_saveexec_b32 s22, s10
	s_cbranch_execnz .LBB0_476
	s_branch .LBB0_477
.LBB0_575:                              ;   in Loop: Header=BB0_361 Depth=2
	s_mov_b32 s10, -1
	s_mov_b32 s23, exec_lo
	v_cmpx_eq_u16_e32 0x80, v56
; %bb.576:                              ;   in Loop: Header=BB0_361 Depth=2
	s_xor_b32 s10, exec_lo, -1
; %bb.577:                              ;   in Loop: Header=BB0_361 Depth=2
	s_or_b32 exec_lo, exec_lo, s23
	s_and_b32 s10, s10, exec_lo
                                        ; implicit-def: $vgpr56
	s_or_saveexec_b32 s22, s22
	v_mov_b32_e32 v47, 0x7f800001
	s_xor_b32 exec_lo, exec_lo, s22
	s_cbranch_execz .LBB0_479
.LBB0_578:                              ;   in Loop: Header=BB0_361 Depth=2
	v_cmp_ne_u16_e32 vcc_lo, 0, v56
	v_mov_b32_e32 v47, 0
	s_andn2_b32 s10, s10, exec_lo
	s_and_b32 s23, vcc_lo, exec_lo
	s_or_b32 s10, s10, s23
	s_or_b32 exec_lo, exec_lo, s22
	s_and_saveexec_b32 s22, s10
	s_cbranch_execnz .LBB0_480
	s_branch .LBB0_481
.LBB0_579:                              ;   in Loop: Header=BB0_361 Depth=2
	v_cmp_eq_u16_sdwa s24, v20, v41 src0_sel:BYTE_3 src1_sel:DWORD
	s_mov_b32 s10, -1
	s_and_saveexec_b32 s23, s24
; %bb.580:                              ;   in Loop: Header=BB0_361 Depth=2
	s_xor_b32 s10, exec_lo, -1
; %bb.581:                              ;   in Loop: Header=BB0_361 Depth=2
	s_or_b32 exec_lo, exec_lo, s23
	s_and_b32 s10, s10, exec_lo
	s_or_saveexec_b32 s22, s22
	v_mov_b32_e32 v47, 0x7f800001
	s_xor_b32 exec_lo, exec_lo, s22
	s_cbranch_execz .LBB0_491
.LBB0_582:                              ;   in Loop: Header=BB0_361 Depth=2
	v_cmp_ne_u16_sdwa s23, v20, v55 src0_sel:BYTE_3 src1_sel:DWORD
	v_mov_b32_e32 v47, 0
	s_andn2_b32 s10, s10, exec_lo
	s_and_b32 s23, s23, exec_lo
	s_or_b32 s10, s10, s23
	s_or_b32 exec_lo, exec_lo, s22
	s_and_saveexec_b32 s22, s10
	s_cbranch_execnz .LBB0_492
	s_branch .LBB0_493
.LBB0_583:                              ;   in Loop: Header=BB0_361 Depth=2
	v_cmp_eq_u16_sdwa s24, v83, v41 src0_sel:BYTE_3 src1_sel:DWORD
	s_mov_b32 s10, -1
	s_and_saveexec_b32 s23, s24
; %bb.584:                              ;   in Loop: Header=BB0_361 Depth=2
	s_xor_b32 s10, exec_lo, -1
; %bb.585:                              ;   in Loop: Header=BB0_361 Depth=2
	s_or_b32 exec_lo, exec_lo, s23
	s_and_b32 s10, s10, exec_lo
	s_or_saveexec_b32 s22, s22
	v_mov_b32_e32 v20, 0x7f800001
	s_xor_b32 exec_lo, exec_lo, s22
	s_cbranch_execz .LBB0_495
.LBB0_586:                              ;   in Loop: Header=BB0_361 Depth=2
	v_cmp_ne_u16_sdwa s23, v83, v55 src0_sel:BYTE_3 src1_sel:DWORD
	v_mov_b32_e32 v20, 0
	s_andn2_b32 s10, s10, exec_lo
	s_and_b32 s23, s23, exec_lo
	s_or_b32 s10, s10, s23
	s_or_b32 exec_lo, exec_lo, s22
	s_and_saveexec_b32 s22, s10
	s_cbranch_execnz .LBB0_496
	s_branch .LBB0_497
.LBB0_587:                              ;   in Loop: Header=BB0_36 Depth=1
	s_or_b32 exec_lo, exec_lo, s12
	s_or_b32 exec_lo, exec_lo, s11
	s_and_saveexec_b32 s10, s7
	s_cbranch_execz .LBB0_358
.LBB0_588:                              ;   in Loop: Header=BB0_36 Depth=1
	s_and_saveexec_b32 s11, s19
	s_xor_b32 s11, exec_lo, s11
	s_cbranch_execz .LBB0_603
; %bb.589:                              ;   in Loop: Header=BB0_36 Depth=1
	s_and_saveexec_b32 s12, s8
	s_cbranch_execz .LBB0_602
; %bb.590:                              ;   in Loop: Header=BB0_36 Depth=1
	s_mov_b32 s23, exec_lo
	s_mov_b32 s22, exec_lo
	v_mbcnt_lo_u32_b32 v18, s23, 0
	s_waitcnt vmcnt(0) lgkmcnt(0)
	s_waitcnt_vscnt null, 0x0
	buffer_gl1_inv
	buffer_gl0_inv
	v_cmpx_eq_u32_e32 0, v18
	s_cbranch_execz .LBB0_592
; %bb.591:                              ;   in Loop: Header=BB0_36 Depth=1
	s_bcnt1_i32_b32 s23, s23
	v_mov_b32_e32 v54, s23
	ds_add_u64 v0, v[54:55]
	s_trap 2
.LBB0_592:                              ;   in Loop: Header=BB0_36 Depth=1
	s_or_b32 exec_lo, exec_lo, s22
	s_trap 2
	ds_read_b64 v[18:19], v0
	s_waitcnt lgkmcnt(0)
	buffer_gl0_inv
	v_add_co_u32 v2, vcc_lo, v2, v102
	v_add_co_ci_u32_e64 v3, null, 0, v3, vcc_lo
	s_mov_b32 s22, exec_lo
	v_cmpx_lt_u64_e64 v[18:19], v[2:3]
	s_cbranch_execz .LBB0_601
; %bb.593:                              ;   in Loop: Header=BB0_36 Depth=1
	s_mov_b32 s23, 0
	s_mov_b32 s26, 0
                                        ; implicit-def: $sgpr24
                                        ; implicit-def: $sgpr25
	s_inst_prefetch 0x1
	s_branch .LBB0_595
	.p2align	6
.LBB0_594:                              ;   in Loop: Header=BB0_595 Depth=2
	s_or_b32 exec_lo, exec_lo, s28
	s_and_b32 s27, exec_lo, s29
	s_or_b32 s23, s27, s23
	s_andn2_b32 s24, s24, exec_lo
	s_and_b32 s27, s25, exec_lo
	s_or_b32 s24, s24, s27
	s_andn2_b32 exec_lo, exec_lo, s23
	s_cbranch_execz .LBB0_599
.LBB0_595:                              ;   Parent Loop BB0_36 Depth=1
                                        ; =>  This Inner Loop Header: Depth=2
	s_add_i32 s26, s26, 1
	s_cmpk_lg_i32 s26, 0x2710
	s_cselect_b32 s27, -1, 0
	s_and_b32 vcc_lo, exec_lo, s27
	s_cbranch_vccz .LBB0_597
; %bb.596:                              ;   in Loop: Header=BB0_595 Depth=2
	s_mov_b32 s29, -1
	s_or_b32 s25, s25, exec_lo
	s_and_saveexec_b32 s28, s27
	s_cbranch_execz .LBB0_594
	s_branch .LBB0_598
	.p2align	6
.LBB0_597:                              ;   in Loop: Header=BB0_595 Depth=2
	s_trap 2
	ds_read_b64 v[18:19], v0
	s_andn2_b32 s27, s27, exec_lo
	s_mov_b32 s26, 0
	s_waitcnt lgkmcnt(0)
	flat_load_dword v18, v[18:19] glc dlc
	s_waitcnt vmcnt(0) lgkmcnt(0)
	buffer_gl1_inv
	buffer_gl0_inv
	v_cmp_eq_u32_e32 vcc_lo, 0, v18
	s_and_b32 s28, vcc_lo, exec_lo
	s_or_b32 s27, s27, s28
	s_mov_b32 s29, -1
	s_or_b32 s25, s25, exec_lo
	s_and_saveexec_b32 s28, s27
	s_cbranch_execz .LBB0_594
.LBB0_598:                              ;   in Loop: Header=BB0_595 Depth=2
	s_sleep 1
	s_trap 2
	ds_read_b64 v[18:19], v0
	s_waitcnt lgkmcnt(0)
	buffer_gl0_inv
	s_andn2_b32 s25, s25, exec_lo
	v_cmp_ge_u64_e32 vcc_lo, v[18:19], v[2:3]
	s_orn2_b32 s29, vcc_lo, exec_lo
	s_branch .LBB0_594
.LBB0_599:                              ;   in Loop: Header=BB0_36 Depth=1
	s_inst_prefetch 0x2
	s_or_b32 exec_lo, exec_lo, s23
	s_and_saveexec_b32 s23, s24
	s_xor_b32 s23, exec_lo, s23
	s_cbranch_execz .LBB0_601
; %bb.600:                              ;   in Loop: Header=BB0_36 Depth=1
	ds_write_b32 v0, v119
	s_trap 2
.LBB0_601:                              ;   in Loop: Header=BB0_36 Depth=1
	s_or_b32 exec_lo, exec_lo, s22
	;;#ASMSTART
	s_wakeup
	;;#ASMEND
.LBB0_602:                              ;   in Loop: Header=BB0_36 Depth=1
	s_or_b32 exec_lo, exec_lo, s12
.LBB0_603:                              ;   in Loop: Header=BB0_36 Depth=1
	s_andn2_saveexec_b32 s11, s11
	s_cbranch_execz .LBB0_605
; %bb.604:                              ;   in Loop: Header=BB0_36 Depth=1
	s_waitcnt vmcnt(0) lgkmcnt(0)
	s_waitcnt_vscnt null, 0x0
	buffer_gl1_inv
	buffer_gl0_inv
	s_barrier
.LBB0_605:                              ;   in Loop: Header=BB0_36 Depth=1
	s_or_b32 exec_lo, exec_lo, s11
	s_or_b32 exec_lo, exec_lo, s10
	s_and_saveexec_b32 s10, s9
	s_cbranch_execz .LBB0_35
.LBB0_606:                              ;   in Loop: Header=BB0_36 Depth=1
	v_add_co_u32 v48, vcc_lo, v48, 1
	v_add_co_ci_u32_e64 v49, null, 0, v49, vcc_lo
	s_waitcnt vmcnt(0) lgkmcnt(0)
	s_waitcnt_vscnt null, 0x0
	flat_store_dwordx2 v[50:51], v[48:49]
	s_branch .LBB0_35
.LBB0_607:
	s_or_b32 exec_lo, exec_lo, s20
	s_or_b32 exec_lo, exec_lo, s17
	s_and_saveexec_b32 s5, s16
	s_cbranch_execz .LBB0_20
.LBB0_608:
	s_waitcnt vmcnt(0) lgkmcnt(0)
	flat_store_dwordx2 v[32:33], v[48:49] offset:104
	s_or_b32 exec_lo, exec_lo, s5
	s_and_saveexec_b32 s5, s4
	s_cbranch_execnz .LBB0_21
	s_branch .LBB0_22
.LBB0_609:
	s_inst_prefetch 0x2
	s_or_b32 exec_lo, exec_lo, s8
	s_and_saveexec_b32 s8, s9
	s_xor_b32 s8, exec_lo, s8
	s_cbranch_execz .LBB0_611
; %bb.610:
	v_mov_b32_e32 v0, 1
	ds_write_b32 v0, v0
	s_trap 2
.LBB0_611:
	s_or_b32 exec_lo, exec_lo, s7
	;;#ASMSTART
	s_wakeup
	;;#ASMEND
.LBB0_612:
	s_or_b32 exec_lo, exec_lo, s6
.LBB0_613:
	s_andn2_saveexec_b32 s5, s5
	s_cbranch_execz .LBB0_615
; %bb.614:
	s_waitcnt vmcnt(0) lgkmcnt(0)
	s_waitcnt_vscnt null, 0x0
	buffer_gl1_inv
	buffer_gl0_inv
	s_barrier
.LBB0_615:
	s_or_b32 exec_lo, exec_lo, s4
	s_clause 0x17
	buffer_load_dword v79, off, s[0:3], s32
	buffer_load_dword v78, off, s[0:3], s32 offset:4
	buffer_load_dword v77, off, s[0:3], s32 offset:8
	;; [unrolled: 1-line block ×23, first 2 shown]
	s_waitcnt vmcnt(0) lgkmcnt(0)
	s_setpc_b64 s[30:31]
.Lfunc_end0:
	.size	_ZN12_GLOBAL__N_17runRingI12rccl_bfloat88FuncProdIS1_E7ProtoLLLi0ELi1ELi0EEEviiP15ncclDevWorkColl, .Lfunc_end0-_ZN12_GLOBAL__N_17runRingI12rccl_bfloat88FuncProdIS1_E7ProtoLLLi0ELi1ELi0EEEviiP15ncclDevWorkColl
                                        ; -- End function
	.set .L_ZN12_GLOBAL__N_17runRingI12rccl_bfloat88FuncProdIS1_E7ProtoLLLi0ELi1ELi0EEEviiP15ncclDevWorkColl.num_vgpr, 120
	.set .L_ZN12_GLOBAL__N_17runRingI12rccl_bfloat88FuncProdIS1_E7ProtoLLLi0ELi1ELi0EEEviiP15ncclDevWorkColl.num_agpr, 0
	.set .L_ZN12_GLOBAL__N_17runRingI12rccl_bfloat88FuncProdIS1_E7ProtoLLLi0ELi1ELi0EEEviiP15ncclDevWorkColl.numbered_sgpr, 44
	.set .L_ZN12_GLOBAL__N_17runRingI12rccl_bfloat88FuncProdIS1_E7ProtoLLLi0ELi1ELi0EEEviiP15ncclDevWorkColl.num_named_barrier, 0
	.set .L_ZN12_GLOBAL__N_17runRingI12rccl_bfloat88FuncProdIS1_E7ProtoLLLi0ELi1ELi0EEEviiP15ncclDevWorkColl.private_seg_size, 100
	.set .L_ZN12_GLOBAL__N_17runRingI12rccl_bfloat88FuncProdIS1_E7ProtoLLLi0ELi1ELi0EEEviiP15ncclDevWorkColl.uses_vcc, 1
	.set .L_ZN12_GLOBAL__N_17runRingI12rccl_bfloat88FuncProdIS1_E7ProtoLLLi0ELi1ELi0EEEviiP15ncclDevWorkColl.uses_flat_scratch, 1
	.set .L_ZN12_GLOBAL__N_17runRingI12rccl_bfloat88FuncProdIS1_E7ProtoLLLi0ELi1ELi0EEEviiP15ncclDevWorkColl.has_dyn_sized_stack, 0
	.set .L_ZN12_GLOBAL__N_17runRingI12rccl_bfloat88FuncProdIS1_E7ProtoLLLi0ELi1ELi0EEEviiP15ncclDevWorkColl.has_recursion, 0
	.set .L_ZN12_GLOBAL__N_17runRingI12rccl_bfloat88FuncProdIS1_E7ProtoLLLi0ELi1ELi0EEEviiP15ncclDevWorkColl.has_indirect_call, 0
	.section	.AMDGPU.csdata,"",@progbits
; Function info:
; codeLenInByte = 21936
; TotalNumSgprs: 46
; NumVgprs: 120
; ScratchSize: 100
; MemoryBound: 0
	.text
	.p2align	2                               ; -- Begin function _Z51ncclDevFunc_ReduceScatter_RING_LL_Prod_f8e5m2_0_0_1v
	.type	_Z51ncclDevFunc_ReduceScatter_RING_LL_Prod_f8e5m2_0_0_1v,@function
_Z51ncclDevFunc_ReduceScatter_RING_LL_Prod_f8e5m2_0_0_1v: ; @_Z51ncclDevFunc_ReduceScatter_RING_LL_Prod_f8e5m2_0_0_1v
; %bb.0:
	s_waitcnt vmcnt(0) expcnt(0) lgkmcnt(0)
	s_mov_b32 s57, s33
	s_mov_b32 s33, s32
	s_or_saveexec_b32 s4, -1
	buffer_store_dword v42, off, s[0:3], s33 offset:8 ; 4-byte Folded Spill
	s_mov_b32 exec_lo, s4
	s_addk_i32 s32, 0x200
	buffer_store_dword v40, off, s[0:3], s33 offset:4 ; 4-byte Folded Spill
	buffer_store_dword v41, off, s[0:3], s33 ; 4-byte Folded Spill
	v_writelane_b32 v42, s30, 0
	v_writelane_b32 v42, s31, 1
	s_trap 2
	ds_read_b32 v0, v0
	s_waitcnt lgkmcnt(0)
	v_cmp_gt_i32_e32 vcc_lo, 1, v0
	s_cbranch_vccnz .LBB1_8
; %bb.1:
	v_and_b32_e32 v40, 0x3ff, v31
	v_mov_b32_e32 v41, 5
	s_mov_b32 s46, s12
	s_mov_b64 s[44:45], s[8:9]
	s_mov_b32 s47, 0
	s_inst_prefetch 0x1
	s_branch .LBB1_3
	.p2align	6
.LBB1_2:                                ;   in Loop: Header=BB1_3 Depth=1
	s_or_b32 exec_lo, exec_lo, s56
	s_trap 2
	ds_read_b32 v0, v0
	s_add_i32 s47, s47, 1
	s_waitcnt lgkmcnt(0)
	v_cmp_lt_i32_e32 vcc_lo, s47, v0
	s_cbranch_vccz .LBB1_8
.LBB1_3:                                ; =>This Inner Loop Header: Depth=1
	s_trap 2
	ds_read_b32 v0, v0
	s_cmp_eq_u32 s47, 0
	s_cbranch_scc1 .LBB1_6
; %bb.4:                                ;   in Loop: Header=BB1_3 Depth=1
	s_trap 2
	s_waitcnt lgkmcnt(0)
	ds_read_b32 v1, v0
	s_waitcnt lgkmcnt(0)
	v_xor_b32_e32 v1, v1, v0
	v_and_b32_e32 v1, 0xff0000, v1
	v_cmp_eq_u32_e32 vcc_lo, 0, v1
	s_cbranch_vccnz .LBB1_6
; %bb.5:                                ;   in Loop: Header=BB1_3 Depth=1
	s_waitcnt_vscnt null, 0x0
	s_barrier
	buffer_gl0_inv
	ds_read_b32 v0, v0
.LBB1_6:                                ;   in Loop: Header=BB1_3 Depth=1
	s_waitcnt lgkmcnt(0)
	v_lshlrev_b32_sdwa v1, v41, v0 dst_sel:DWORD dst_unused:UNUSED_PAD src0_sel:DWORD src1_sel:BYTE_2
	s_mov_b32 s56, exec_lo
	v_cmpx_lt_u32_e64 v40, v1
	s_cbranch_execz .LBB1_2
; %bb.7:                                ;   in Loop: Header=BB1_3 Depth=1
	s_mov_b64 s[4:5], src_shared_base
	v_mov_b32_e32 v0, v40
	v_mov_b32_e32 v3, s5
	s_getpc_b64 s[6:7]
	s_add_u32 s6, s6, _ZN12_GLOBAL__N_17runRingI12rccl_bfloat88FuncProdIS1_E7ProtoLLLi0ELi1ELi0EEEviiP15ncclDevWorkColl@rel32@lo+4
	s_addc_u32 s7, s7, _ZN12_GLOBAL__N_17runRingI12rccl_bfloat88FuncProdIS1_E7ProtoLLLi0ELi1ELi0EEEviiP15ncclDevWorkColl@rel32@hi+12
	s_mov_b64 s[8:9], s[44:45]
	s_mov_b32 s12, s46
	s_swappc_b64 s[30:31], s[6:7]
	s_branch .LBB1_2
.LBB1_8:
	s_inst_prefetch 0x2
	s_clause 0x1
	buffer_load_dword v41, off, s[0:3], s33
	buffer_load_dword v40, off, s[0:3], s33 offset:4
	v_readlane_b32 s30, v42, 0
	v_readlane_b32 s31, v42, 1
	s_mov_b32 s32, s33
	s_or_saveexec_b32 s4, -1
	buffer_load_dword v42, off, s[0:3], s33 offset:8 ; 4-byte Folded Reload
	s_mov_b32 exec_lo, s4
	s_mov_b32 s33, s57
	s_waitcnt vmcnt(0)
	s_setpc_b64 s[30:31]
.Lfunc_end1:
	.size	_Z51ncclDevFunc_ReduceScatter_RING_LL_Prod_f8e5m2_0_0_1v, .Lfunc_end1-_Z51ncclDevFunc_ReduceScatter_RING_LL_Prod_f8e5m2_0_0_1v
                                        ; -- End function
	.set .L_Z51ncclDevFunc_ReduceScatter_RING_LL_Prod_f8e5m2_0_0_1v.num_vgpr, max(43, .L_ZN12_GLOBAL__N_17runRingI12rccl_bfloat88FuncProdIS1_E7ProtoLLLi0ELi1ELi0EEEviiP15ncclDevWorkColl.num_vgpr)
	.set .L_Z51ncclDevFunc_ReduceScatter_RING_LL_Prod_f8e5m2_0_0_1v.num_agpr, max(0, .L_ZN12_GLOBAL__N_17runRingI12rccl_bfloat88FuncProdIS1_E7ProtoLLLi0ELi1ELi0EEEviiP15ncclDevWorkColl.num_agpr)
	.set .L_Z51ncclDevFunc_ReduceScatter_RING_LL_Prod_f8e5m2_0_0_1v.numbered_sgpr, max(58, .L_ZN12_GLOBAL__N_17runRingI12rccl_bfloat88FuncProdIS1_E7ProtoLLLi0ELi1ELi0EEEviiP15ncclDevWorkColl.numbered_sgpr)
	.set .L_Z51ncclDevFunc_ReduceScatter_RING_LL_Prod_f8e5m2_0_0_1v.num_named_barrier, max(0, .L_ZN12_GLOBAL__N_17runRingI12rccl_bfloat88FuncProdIS1_E7ProtoLLLi0ELi1ELi0EEEviiP15ncclDevWorkColl.num_named_barrier)
	.set .L_Z51ncclDevFunc_ReduceScatter_RING_LL_Prod_f8e5m2_0_0_1v.private_seg_size, 16+max(.L_ZN12_GLOBAL__N_17runRingI12rccl_bfloat88FuncProdIS1_E7ProtoLLLi0ELi1ELi0EEEviiP15ncclDevWorkColl.private_seg_size)
	.set .L_Z51ncclDevFunc_ReduceScatter_RING_LL_Prod_f8e5m2_0_0_1v.uses_vcc, or(1, .L_ZN12_GLOBAL__N_17runRingI12rccl_bfloat88FuncProdIS1_E7ProtoLLLi0ELi1ELi0EEEviiP15ncclDevWorkColl.uses_vcc)
	.set .L_Z51ncclDevFunc_ReduceScatter_RING_LL_Prod_f8e5m2_0_0_1v.uses_flat_scratch, or(0, .L_ZN12_GLOBAL__N_17runRingI12rccl_bfloat88FuncProdIS1_E7ProtoLLLi0ELi1ELi0EEEviiP15ncclDevWorkColl.uses_flat_scratch)
	.set .L_Z51ncclDevFunc_ReduceScatter_RING_LL_Prod_f8e5m2_0_0_1v.has_dyn_sized_stack, or(0, .L_ZN12_GLOBAL__N_17runRingI12rccl_bfloat88FuncProdIS1_E7ProtoLLLi0ELi1ELi0EEEviiP15ncclDevWorkColl.has_dyn_sized_stack)
	.set .L_Z51ncclDevFunc_ReduceScatter_RING_LL_Prod_f8e5m2_0_0_1v.has_recursion, or(1, .L_ZN12_GLOBAL__N_17runRingI12rccl_bfloat88FuncProdIS1_E7ProtoLLLi0ELi1ELi0EEEviiP15ncclDevWorkColl.has_recursion)
	.set .L_Z51ncclDevFunc_ReduceScatter_RING_LL_Prod_f8e5m2_0_0_1v.has_indirect_call, or(0, .L_ZN12_GLOBAL__N_17runRingI12rccl_bfloat88FuncProdIS1_E7ProtoLLLi0ELi1ELi0EEEviiP15ncclDevWorkColl.has_indirect_call)
	.section	.AMDGPU.csdata,"",@progbits
; Function info:
; codeLenInByte = 392
; TotalNumSgprs: 60
; NumVgprs: 120
; ScratchSize: 116
; MemoryBound: 0
	.text
	.p2align	2                               ; -- Begin function _ZN12_GLOBAL__N_17runRingI12rccl_bfloat88FuncProdIS1_E7ProtoLLLi0ELi2ELi0EEEviiP15ncclDevWorkColl
	.type	_ZN12_GLOBAL__N_17runRingI12rccl_bfloat88FuncProdIS1_E7ProtoLLLi0ELi2ELi0EEEviiP15ncclDevWorkColl,@function
_ZN12_GLOBAL__N_17runRingI12rccl_bfloat88FuncProdIS1_E7ProtoLLLi0ELi2ELi0EEEviiP15ncclDevWorkColl: ; @_ZN12_GLOBAL__N_17runRingI12rccl_bfloat88FuncProdIS1_E7ProtoLLLi0ELi2ELi0EEEviiP15ncclDevWorkColl
; %bb.0:
	s_waitcnt vmcnt(0) expcnt(0) lgkmcnt(0)
	buffer_store_dword v40, off, s[0:3], s32 offset:92 ; 4-byte Folded Spill
	buffer_store_dword v41, off, s[0:3], s32 offset:88 ; 4-byte Folded Spill
	;; [unrolled: 1-line block ×23, first 2 shown]
	buffer_store_dword v79, off, s[0:3], s32 ; 4-byte Folded Spill
	s_trap 2
	s_clause 0x2
	flat_load_dword v10, v[2:3]
	flat_load_dwordx4 v[6:9], v[2:3] offset:72
	flat_load_dwordx2 v[18:19], v[2:3] offset:88
	v_mov_b32_e32 v4, v0
                                        ; implicit-def: $vgpr26_vgpr27
	s_waitcnt vmcnt(2) lgkmcnt(2)
	v_not_b32_sdwa v0, v10 dst_sel:DWORD dst_unused:UNUSED_PAD src0_sel:BYTE_0
	ds_read_b32 v5, v0
	ds_read_b64 v[24:25], v0
	v_add_nc_u32_sdwa v11, v10, v0 dst_sel:DWORD dst_unused:UNUSED_PAD src0_sel:BYTE_1 src1_sel:DWORD
	v_ashrrev_i32_e32 v12, 31, v11
	s_waitcnt vmcnt(1) lgkmcnt(3)
	v_mul_lo_u32 v13, v9, v11
	v_mad_u64_u32 v[20:21], null, v8, v11, 0
	v_mul_lo_u32 v11, v8, v12
	v_add3_u32 v54, v21, v11, v13
	s_waitcnt lgkmcnt(1)
	v_readfirstlane_b32 s14, v5
	v_cmp_ne_u32_sdwa s4, v5, v10 src0_sel:DWORD src1_sel:BYTE_0
                                        ; implicit-def: $vgpr21_vgpr22
	s_and_saveexec_b32 s5, s4
	s_xor_b32 s4, exec_lo, s5
	s_cbranch_execz .LBB2_6
; %bb.1:
	v_cmp_ne_u32_sdwa s5, v5, v10 src0_sel:DWORD src1_sel:BYTE_1
                                        ; implicit-def: $vgpr21_vgpr22
                                        ; implicit-def: $vgpr26_vgpr27
	s_and_saveexec_b32 s6, s5
	s_xor_b32 s5, exec_lo, s6
	s_cbranch_execz .LBB2_3
; %bb.2:
	flat_load_dwordx2 v[10:11], v[2:3] offset:96
	v_add_nc_u32_e32 v0, v5, v0
	v_ashrrev_i32_e32 v5, 31, v0
	v_mul_lo_u32 v12, v9, v0
	v_mad_u64_u32 v[26:27], null, v8, v0, v[6:7]
	v_mul_lo_u32 v5, v8, v5
	v_add3_u32 v27, v12, v27, v5
	s_waitcnt vmcnt(0) lgkmcnt(0)
	v_lshrrev_b64 v[21:22], 17, v[10:11]
.LBB2_3:
	s_andn2_saveexec_b32 s5, s5
	s_cbranch_execz .LBB2_5
; %bb.4:
	flat_load_dword v0, v[2:3] offset:100
	v_add_co_u32 v26, vcc_lo, v20, v6
	s_waitcnt vmcnt(1)
	v_mov_b32_e32 v8, v18
	v_add_co_ci_u32_e64 v27, null, v54, v7, vcc_lo
	v_mov_b32_e32 v9, v19
	s_waitcnt vmcnt(0) lgkmcnt(0)
	v_lshrrev_b32_e32 v21, 6, v0
.LBB2_5:
	s_or_b32 exec_lo, exec_lo, s5
.LBB2_6:
	s_andn2_saveexec_b32 s4, s4
	s_cbranch_execz .LBB2_8
; %bb.7:
	flat_load_dwordx2 v[8:9], v[2:3] offset:96
	v_mov_b32_e32 v26, 0
	v_mov_b32_e32 v27, 0
	s_waitcnt vmcnt(0) lgkmcnt(0)
	v_lshlrev_b64 v[21:22], 4, v[8:9]
	v_mov_b32_e32 v9, v7
	v_mov_b32_e32 v8, v6
.LBB2_8:
	s_or_b32 exec_lo, exec_lo, s4
	s_load_dword s4, s[8:9], 0x0
	v_mov_b32_e32 v15, 0
	s_clause 0x1
	flat_load_ushort v17, v[2:3] offset:8
	flat_load_dword v16, v[2:3] offset:4
	v_ashrrev_i32_e32 v5, 31, v4
	v_mov_b32_e32 v28, 0
	v_mov_b32_e32 v29, 0
	s_mov_b32 s6, 0
	s_waitcnt lgkmcnt(0)
	s_cmp_lt_u32 s12, s4
	s_cselect_b32 s4, 12, 18
	s_add_u32 s4, s8, s4
	s_addc_u32 s5, s9, 0
	flat_load_dwordx4 v[10:13], v[2:3] offset:16
	global_load_ushort v0, v15, s[4:5]
	s_trap 2
	v_lshrrev_b32_e32 v2, 27, v5
	v_add_nc_u32_e32 v22, v4, v2
	s_waitcnt vmcnt(2)
	v_lshrrev_b64 v[2:3], 31, v[16:17]
	v_and_b32_e32 v3, 0xffffffe0, v22
	v_sub_nc_u32_e32 v30, v4, v3
	v_and_b32_e32 v2, 3, v2
	v_cmp_eq_u32_e64 s4, 0, v30
	v_and_b32_e32 v16, 0xffff, v2
	s_waitcnt vmcnt(0)
	ds_read_b32 v14, v0
	s_waitcnt lgkmcnt(0)
	v_cmp_gt_i32_e32 vcc_lo, 0, v14
	v_readfirstlane_b32 s5, v14
	s_cbranch_vccnz .LBB2_10
; %bb.9:
	s_trap 2
	ds_read_b64 v[2:3], v0
	v_lshlrev_b64 v[14:15], 3, v[14:15]
	s_mov_b32 s6, 1
	s_waitcnt lgkmcnt(0)
	v_add_co_u32 v2, vcc_lo, v2, v14
	v_add_co_ci_u32_e64 v3, null, v3, v15, vcc_lo
	flat_load_dwordx2 v[2:3], v[2:3]
	s_waitcnt vmcnt(0) lgkmcnt(0)
	v_mad_u64_u32 v[2:3], null, 0xa8, v16, v[2:3]
	s_clause 0x1
	flat_load_dwordx2 v[34:35], v[2:3] offset:504
	flat_load_dwordx2 v[36:37], v[2:3] offset:608
	v_add_co_u32 v32, vcc_lo, 0x1f8, v2
	v_add_co_ci_u32_e64 v33, null, 0, v3, vcc_lo
	v_cndmask_b32_e64 v2, 0, v32, s4
	v_cndmask_b32_e64 v3, 0, v33, s4
	s_branch .LBB2_11
.LBB2_10:
	v_mov_b32_e32 v32, 0
	v_mov_b32_e32 v2, 0
	;; [unrolled: 1-line block ×4, first 2 shown]
                                        ; implicit-def: $vgpr36_vgpr37
                                        ; implicit-def: $vgpr34_vgpr35
.LBB2_11:
	s_trap 2
	ds_read_b32 v14, v0
	s_waitcnt lgkmcnt(0)
	v_cmp_gt_i32_e32 vcc_lo, 0, v14
	s_cbranch_vccnz .LBB2_13
; %bb.12:
	s_trap 2
	ds_read_b64 v[22:23], v0
	v_mov_b32_e32 v15, 0
	v_lshlrev_b64 v[14:15], 3, v[14:15]
	s_waitcnt lgkmcnt(0)
	v_add_co_u32 v14, vcc_lo, v22, v14
	v_add_co_ci_u32_e64 v15, null, v23, v15, vcc_lo
	v_cmp_eq_u32_e32 vcc_lo, 0, v30
	flat_load_dwordx2 v[14:15], v[14:15]
	s_waitcnt vmcnt(0) lgkmcnt(0)
	v_mad_u64_u32 v[28:29], null, 0xa8, v16, v[14:15]
	s_clause 0x1
	flat_load_dwordx2 v[38:39], v[28:29]
	flat_load_dwordx2 v[22:23], v[28:29] offset:104
	v_cndmask_b32_e32 v17, 0, v29, vcc_lo
	v_cndmask_b32_e32 v16, 0, v28, vcc_lo
	s_branch .LBB2_14
.LBB2_13:
	v_mov_b32_e32 v16, 0
	v_mov_b32_e32 v17, 0
                                        ; implicit-def: $vgpr22_vgpr23
                                        ; implicit-def: $vgpr38_vgpr39
.LBB2_14:
	v_subrev_nc_u32_e32 v14, 32, v1
	v_cmp_gt_i32_e32 vcc_lo, s6, v30
	v_mov_b32_e32 v50, 0
	v_mov_b32_e32 v51, 0
                                        ; implicit-def: $vgpr48_vgpr49
	v_cmp_ge_i32_e64 s4, v4, v14
	v_mov_b32_e32 v14, 0
	v_mov_b32_e32 v15, 0
	s_and_b32 s16, s4, vcc_lo
	s_and_saveexec_b32 s4, s16
	s_cbranch_execz .LBB2_16
; %bb.15:
	s_clause 0x1
	flat_load_dwordx2 v[50:51], v[2:3] offset:56
	flat_load_dwordx2 v[48:49], v[2:3] offset:104
.LBB2_16:
	s_or_b32 exec_lo, exec_lo, s4
	v_mov_b32_e32 v52, 0
	v_mov_b32_e32 v53, 0
	v_cmp_gt_i32_e64 s4, s6, v4
                                        ; implicit-def: $vgpr64_vgpr65
	s_and_saveexec_b32 s6, s4
	s_cbranch_execz .LBB2_18
; %bb.17:
	flat_load_dwordx2 v[52:53], v[16:17] offset:56
	s_waitcnt vmcnt(0) lgkmcnt(0)
	flat_load_dwordx2 v[64:65], v[52:53] glc dlc
	s_waitcnt vmcnt(0)
	flat_load_dwordx4 v[14:17], v[16:17] offset:96
.LBB2_18:
	s_or_b32 exec_lo, exec_lo, s6
	v_mov_b32_e32 v2, 0
	v_mov_b32_e32 v3, 0
	s_mov_b32 s17, exec_lo
	v_cmpx_ne_u64_e32 0, v[8:9]
	s_cbranch_execnz .LBB2_34
; %bb.19:
	s_or_b32 exec_lo, exec_lo, s17
	s_and_saveexec_b32 s5, s16
	s_cbranch_execnz .LBB2_608
.LBB2_20:
	s_or_b32 exec_lo, exec_lo, s5
	s_and_saveexec_b32 s5, s4
	s_cbranch_execz .LBB2_22
.LBB2_21:
	s_waitcnt vmcnt(0) lgkmcnt(0)
	flat_store_dwordx2 v[28:29], v[16:17] offset:104
.LBB2_22:
	s_or_b32 exec_lo, exec_lo, s5
	s_mov_b32 s4, exec_lo
	v_cmpx_ne_u32_e32 32, v1
	s_cbranch_execz .LBB2_615
; %bb.23:
	v_cmp_ne_u32_sdwa s5, v1, v0 src0_sel:DWORD src1_sel:WORD_0
	s_and_saveexec_b32 s6, s5
	s_xor_b32 s5, exec_lo, s6
	s_cbranch_execz .LBB2_613
; %bb.24:
	v_and_b32_e32 v0, 31, v31
	s_mov_b32 s6, exec_lo
	v_cmpx_eq_u32_e32 0, v0
	s_cbranch_execz .LBB2_612
; %bb.25:
	s_mov_b32 s8, exec_lo
	s_mov_b32 s7, exec_lo
	v_mbcnt_lo_u32_b32 v0, s8, 0
	s_waitcnt vmcnt(0) lgkmcnt(0)
	s_waitcnt_vscnt null, 0x0
	buffer_gl1_inv
	buffer_gl0_inv
	v_cmpx_eq_u32_e32 0, v0
	s_cbranch_execz .LBB2_27
; %bb.26:
	s_bcnt1_i32_b32 s8, s8
	v_mov_b32_e32 v5, 0
	v_mov_b32_e32 v4, s8
	ds_add_u64 v0, v[4:5]
	s_trap 2
.LBB2_27:
	s_or_b32 exec_lo, exec_lo, s7
	s_trap 2
	ds_read_b64 v[4:5], v0
	s_waitcnt lgkmcnt(0)
	buffer_gl0_inv
	v_lshrrev_b32_e32 v0, 5, v1
	s_mov_b32 s7, exec_lo
	v_add_co_u32 v0, vcc_lo, v2, v0
	v_add_co_ci_u32_e64 v1, null, 0, v3, vcc_lo
	v_cmpx_lt_u64_e64 v[4:5], v[0:1]
	s_cbranch_execz .LBB2_611
; %bb.28:
	s_mov_b32 s8, 0
	s_mov_b32 s11, 0
                                        ; implicit-def: $sgpr9
                                        ; implicit-def: $sgpr10
	s_inst_prefetch 0x1
	s_branch .LBB2_30
	.p2align	6
.LBB2_29:                               ;   in Loop: Header=BB2_30 Depth=1
	s_or_b32 exec_lo, exec_lo, s13
	s_and_b32 s12, exec_lo, s14
	s_or_b32 s8, s12, s8
	s_andn2_b32 s9, s9, exec_lo
	s_and_b32 s12, s10, exec_lo
	s_or_b32 s9, s9, s12
	s_andn2_b32 exec_lo, exec_lo, s8
	s_cbranch_execz .LBB2_609
.LBB2_30:                               ; =>This Inner Loop Header: Depth=1
	s_add_i32 s11, s11, 1
	s_cmpk_lg_i32 s11, 0x2710
	s_cselect_b32 s12, -1, 0
	s_and_b32 vcc_lo, exec_lo, s12
	s_cbranch_vccz .LBB2_32
; %bb.31:                               ;   in Loop: Header=BB2_30 Depth=1
	s_mov_b32 s14, -1
	s_or_b32 s10, s10, exec_lo
	s_and_saveexec_b32 s13, s12
	s_cbranch_execz .LBB2_29
	s_branch .LBB2_33
	.p2align	6
.LBB2_32:                               ;   in Loop: Header=BB2_30 Depth=1
	s_trap 2
	ds_read_b64 v[2:3], v0
	s_andn2_b32 s12, s12, exec_lo
	s_mov_b32 s11, 0
	s_waitcnt lgkmcnt(0)
	flat_load_dword v2, v[2:3] glc dlc
	s_waitcnt vmcnt(0) lgkmcnt(0)
	buffer_gl1_inv
	buffer_gl0_inv
	v_cmp_eq_u32_e32 vcc_lo, 0, v2
	s_and_b32 s13, vcc_lo, exec_lo
	s_or_b32 s12, s12, s13
	s_mov_b32 s14, -1
	s_or_b32 s10, s10, exec_lo
	s_and_saveexec_b32 s13, s12
	s_cbranch_execz .LBB2_29
.LBB2_33:                               ;   in Loop: Header=BB2_30 Depth=1
	s_sleep 1
	s_trap 2
	ds_read_b64 v[2:3], v0
	s_waitcnt lgkmcnt(0)
	buffer_gl0_inv
	s_andn2_b32 s10, s10, exec_lo
	v_cmp_ge_u64_e32 vcc_lo, v[2:3], v[0:1]
	s_orn2_b32 s14, vcc_lo, exec_lo
	s_branch .LBB2_29
.LBB2_34:
	s_ashr_i32 s6, s5, 31
	s_ashr_i32 s15, s14, 31
	s_lshr_b32 s6, s6, 29
	v_add_co_u32 v2, vcc_lo, v18, v6
	s_add_i32 s5, s5, s6
	s_lshl_b64 s[6:7], s[14:15], 2
	v_lshlrev_b32_e32 v101, 3, v4
	v_add_co_ci_u32_e64 v3, null, v19, v7, vcc_lo
	v_add_co_u32 v6, vcc_lo, v24, s6
	v_add_co_ci_u32_e64 v7, null, s7, v25, vcc_lo
	v_add_co_u32 v30, vcc_lo, v2, v20
	v_ashrrev_i32_e32 v112, 31, v101
	v_add_co_ci_u32_e64 v100, null, v3, v54, vcc_lo
	v_add_co_u32 v6, vcc_lo, v6, -4
	v_and_b32_e32 v2, 31, v31
	v_add_co_ci_u32_e64 v7, null, -1, v7, vcc_lo
	v_add_co_u32 v113, vcc_lo, v12, v101
	s_ashr_i32 s8, s5, 3
	v_add_co_ci_u32_e64 v114, null, v13, v112, vcc_lo
	v_add_co_u32 v115, vcc_lo, v10, v101
	v_mov_b32_e32 v55, 0
	s_and_b32 s15, s8, -16
	v_cmp_eq_u32_e64 s8, 0, v2
	v_add_co_ci_u32_e64 v116, null, v11, v112, vcc_lo
	v_add_co_u32 v2, vcc_lo, v26, v12
	v_lshlrev_b64 v[18:19], 4, v[4:5]
	v_add_co_ci_u32_e64 v3, null, v27, v13, vcc_lo
	v_add_co_u32 v10, vcc_lo, v2, v101
	v_mov_b32_e32 v2, v55
	v_add_co_ci_u32_e64 v11, null, v3, v112, vcc_lo
	s_waitcnt vmcnt(1) lgkmcnt(1)
	v_add_co_u32 v117, vcc_lo, v38, v18
	s_ashr_i32 s18, s5, 7
	v_mov_b32_e32 v68, 0
	v_cmp_ne_u64_e64 s5, 0, v[52:53]
	s_waitcnt vmcnt(0) lgkmcnt(0)
	v_cmp_ne_u64_e64 s6, 0, v[14:15]
	v_cmp_ne_u64_e64 s9, 0, v[50:51]
	v_lshlrev_b64 v[70:71], 4, v[1:2]
	v_mov_b32_e32 v2, 0
	v_and_b32_e32 v66, 0x1fffff0, v21
	v_mov_b32_e32 v67, v55
	v_mov_b32_e32 v69, 0
	v_cmp_ne_u32_e64 s7, 32, v1
	v_cmp_ne_u32_sdwa s19, v1, v0 src0_sel:DWORD src1_sel:WORD_0
	v_lshrrev_b32_e32 v102, 5, v1
	v_lshlrev_b32_e32 v103, 3, v1
	v_lshlrev_b32_e32 v5, 6, v1
	v_add_co_ci_u32_e64 v118, null, v39, v19, vcc_lo
	v_mov_b32_e32 v119, 1
	v_mov_b32_e32 v40, 0x7f
	;; [unrolled: 1-line block ×8, first 2 shown]
	s_cmp_gt_i32 s14, 2
	s_mov_b32 s13, 0
	s_cselect_b32 s21, -1, 0
	s_mov_b32 s20, 0
	s_branch .LBB2_36
.LBB2_35:                               ;   in Loop: Header=BB2_36 Depth=1
	s_or_b32 exec_lo, exec_lo, s10
	v_add_co_u32 v68, vcc_lo, v68, v66
	v_add_co_ci_u32_e64 v69, null, 0, v69, vcc_lo
	v_add_co_u32 v36, vcc_lo, v36, 1
	v_add_co_ci_u32_e64 v37, null, 0, v37, vcc_lo
	v_cmp_ge_u64_e32 vcc_lo, v[68:69], v[8:9]
	v_add_co_u32 v10, s10, v10, v66
	v_add_co_ci_u32_e64 v11, null, 0, v11, s10
	s_or_b32 s20, vcc_lo, s20
	s_andn2_b32 exec_lo, exec_lo, s20
	s_cbranch_execz .LBB2_607
.LBB2_36:                               ; =>This Loop Header: Depth=1
                                        ;     Child Loop BB2_41 Depth 2
                                        ;     Child Loop BB2_60 Depth 2
	;; [unrolled: 1-line block ×5, first 2 shown]
                                        ;       Child Loop BB2_90 Depth 3
                                        ;       Child Loop BB2_109 Depth 3
	;; [unrolled: 1-line block ×3, first 2 shown]
                                        ;         Child Loop BB2_139 Depth 4
                                        ;       Child Loop BB2_345 Depth 3
                                        ;       Child Loop BB2_126 Depth 3
                                        ;     Child Loop BB2_361 Depth 2
                                        ;       Child Loop BB2_369 Depth 3
                                        ;     Child Loop BB2_595 Depth 2
	s_waitcnt vmcnt(0) lgkmcnt(0)
	flat_load_dword v20, v[6:7]
	v_sub_co_u32 v18, vcc_lo, v8, v68
	v_sub_co_ci_u32_e64 v19, null, v9, v69, vcc_lo
	v_cmp_lt_u64_e32 vcc_lo, v[66:67], v[18:19]
	v_cndmask_b32_e32 v21, v18, v66, vcc_lo
	v_lshl_add_u32 v18, v21, 1, 14
	v_and_b32_e32 v47, 0x7fffff0, v18
	s_and_saveexec_b32 s11, s5
	s_cbranch_execz .LBB2_52
; %bb.37:                               ;   in Loop: Header=BB2_36 Depth=1
	v_add_co_u32 v18, vcc_lo, v16, 1
	v_add_co_ci_u32_e64 v19, null, 0, v17, vcc_lo
	v_add_co_u32 v80, vcc_lo, v64, 8
	v_add_co_ci_u32_e64 v81, null, 0, v65, vcc_lo
	s_mov_b32 s12, exec_lo
	v_cmpx_lt_u64_e64 v[80:81], v[18:19]
	s_cbranch_execz .LBB2_49
; %bb.38:                               ;   in Loop: Header=BB2_36 Depth=1
	s_mov_b32 s22, 0
	s_mov_b32 s26, 0
	v_cmp_eq_u32_e32 vcc_lo, 0, v45
                                        ; implicit-def: $sgpr23
                                        ; implicit-def: $sgpr24
                                        ; implicit-def: $sgpr25
	s_branch .LBB2_41
.LBB2_39:                               ;   in Loop: Header=BB2_41 Depth=2
	s_or_b32 exec_lo, exec_lo, s41
	v_mov_b32_e32 v54, 0
	s_andn2_b32 s10, s25, exec_lo
	s_and_b32 s25, s29, exec_lo
	s_andn2_b32 s24, s24, exec_lo
	s_and_b32 s28, s28, exec_lo
	s_or_b32 s25, s10, s25
	s_or_b32 s24, s24, s28
.LBB2_40:                               ;   in Loop: Header=BB2_41 Depth=2
	s_or_b32 exec_lo, exec_lo, s27
	s_and_b32 s10, exec_lo, s24
	s_or_b32 s22, s10, s22
	s_andn2_b32 s10, s23, exec_lo
	s_and_b32 s23, s25, exec_lo
	s_or_b32 s23, s10, s23
	s_andn2_b32 exec_lo, exec_lo, s22
	s_cbranch_execz .LBB2_46
.LBB2_41:                               ;   Parent Loop BB2_36 Depth=1
                                        ; =>  This Inner Loop Header: Depth=2
	s_sleep 1
	s_waitcnt vmcnt(0) lgkmcnt(0)
	flat_load_dwordx2 v[64:65], v[52:53] glc dlc
	v_mov_b32_e32 v54, v45
	s_or_b32 s25, s25, exec_lo
	s_or_b32 s24, s24, exec_lo
                                        ; implicit-def: $vgpr17
	s_and_saveexec_b32 s27, vcc_lo
	s_cbranch_execz .LBB2_40
; %bb.42:                               ;   in Loop: Header=BB2_41 Depth=2
	s_add_i32 s26, s26, 1
	s_mov_b32 s28, -1
	s_cmpk_lg_i32 s26, 0x2710
	s_mov_b32 s29, -1
	s_cselect_b32 s40, -1, 0
	s_cmpk_eq_i32 s26, 0x2710
                                        ; implicit-def: $vgpr17
	s_cbranch_scc1 .LBB2_44
; %bb.43:                               ;   in Loop: Header=BB2_41 Depth=2
	s_and_saveexec_b32 s41, s40
	s_cbranch_execz .LBB2_39
	s_branch .LBB2_45
.LBB2_44:                               ;   in Loop: Header=BB2_41 Depth=2
	s_trap 2
	ds_read_b64 v[80:81], v0
	s_andn2_b32 s26, s40, exec_lo
	s_mov_b32 s29, 0
	s_waitcnt vmcnt(0) lgkmcnt(0)
	s_waitcnt_vscnt null, 0x0
	flat_load_dword v17, v[80:81] glc dlc
	s_waitcnt vmcnt(0) lgkmcnt(0)
	buffer_gl1_inv
	buffer_gl0_inv
	v_cmp_eq_u32_e64 s10, 0, v17
	s_and_b32 s10, s10, exec_lo
	s_or_b32 s40, s26, s10
	s_mov_b32 s26, 0
	s_and_saveexec_b32 s41, s40
	s_cbranch_execz .LBB2_39
.LBB2_45:                               ;   in Loop: Header=BB2_41 Depth=2
	s_waitcnt vmcnt(0) lgkmcnt(0)
	v_add_co_u32 v80, s10, v64, 8
	v_add_co_ci_u32_e64 v81, null, 0, v65, s10
	s_or_b32 s29, s29, exec_lo
	v_cmp_ge_u64_e64 s10, v[80:81], v[18:19]
	s_orn2_b32 s28, s10, exec_lo
	s_branch .LBB2_39
.LBB2_46:                               ;   in Loop: Header=BB2_36 Depth=1
	s_or_b32 exec_lo, exec_lo, s22
	s_xor_b32 s10, s23, -1
	s_and_saveexec_b32 s22, s10
	s_xor_b32 s10, exec_lo, s22
	s_cbranch_execz .LBB2_48
; %bb.47:                               ;   in Loop: Header=BB2_36 Depth=1
	v_mov_b32_e32 v54, 1
	s_waitcnt vmcnt(0) lgkmcnt(0)
	s_waitcnt_vscnt null, 0x0
	ds_write_b32 v0, v17
	s_trap 2
.LBB2_48:                               ;   in Loop: Header=BB2_36 Depth=1
	s_or_b32 exec_lo, exec_lo, s10
	v_mov_b32_e32 v45, v54
.LBB2_49:                               ;   in Loop: Header=BB2_36 Depth=1
	s_or_b32 exec_lo, exec_lo, s12
	s_and_saveexec_b32 s10, s6
	s_cbranch_execz .LBB2_51
; %bb.50:                               ;   in Loop: Header=BB2_36 Depth=1
	v_and_b32_e32 v54, 0x7ffffff8, v16
	v_and_b32_e32 v17, 7, v16
	v_cmp_eq_u64_e32 vcc_lo, 0x7ffffff8, v[54:55]
	v_mad_u64_u32 v[80:81], null, v17, 24, v[14:15]
	v_cndmask_b32_e64 v16, v47, s15, vcc_lo
	v_ashrrev_i32_e32 v17, 31, v16
	flat_store_dwordx2 v[80:81], v[16:17] offset:8
	s_waitcnt_vscnt null, 0x0
.LBB2_51:                               ;   in Loop: Header=BB2_36 Depth=1
	s_or_b32 exec_lo, exec_lo, s10
	v_mov_b32_e32 v16, v18
	v_mov_b32_e32 v17, v19
.LBB2_52:                               ;   in Loop: Header=BB2_36 Depth=1
	s_or_b32 exec_lo, exec_lo, s11
	s_and_saveexec_b32 s10, s7
	s_cbranch_execz .LBB2_71
; %bb.53:                               ;   in Loop: Header=BB2_36 Depth=1
	s_and_saveexec_b32 s11, s19
	s_xor_b32 s11, exec_lo, s11
	s_cbranch_execz .LBB2_68
; %bb.54:                               ;   in Loop: Header=BB2_36 Depth=1
	s_and_saveexec_b32 s12, s8
	s_cbranch_execz .LBB2_67
; %bb.55:                               ;   in Loop: Header=BB2_36 Depth=1
	s_mov_b32 s23, exec_lo
	s_mov_b32 s22, exec_lo
	v_mbcnt_lo_u32_b32 v18, s23, 0
	s_waitcnt vmcnt(0) lgkmcnt(0)
	s_waitcnt_vscnt null, 0x0
	buffer_gl1_inv
	buffer_gl0_inv
	v_cmpx_eq_u32_e32 0, v18
	s_cbranch_execz .LBB2_57
; %bb.56:                               ;   in Loop: Header=BB2_36 Depth=1
	s_bcnt1_i32_b32 s23, s23
	v_mov_b32_e32 v54, s23
	ds_add_u64 v0, v[54:55]
	s_trap 2
.LBB2_57:                               ;   in Loop: Header=BB2_36 Depth=1
	s_or_b32 exec_lo, exec_lo, s22
	s_trap 2
	ds_read_b64 v[18:19], v0
	s_waitcnt lgkmcnt(0)
	buffer_gl0_inv
	v_add_co_u32 v2, vcc_lo, v2, v102
	v_add_co_ci_u32_e64 v3, null, 0, v3, vcc_lo
	s_mov_b32 s22, exec_lo
	v_cmpx_lt_u64_e64 v[18:19], v[2:3]
	s_cbranch_execz .LBB2_66
; %bb.58:                               ;   in Loop: Header=BB2_36 Depth=1
	s_mov_b32 s23, 0
	s_mov_b32 s26, 0
                                        ; implicit-def: $sgpr24
                                        ; implicit-def: $sgpr25
	s_inst_prefetch 0x1
	s_branch .LBB2_60
	.p2align	6
.LBB2_59:                               ;   in Loop: Header=BB2_60 Depth=2
	s_or_b32 exec_lo, exec_lo, s28
	s_and_b32 s27, exec_lo, s29
	s_or_b32 s23, s27, s23
	s_andn2_b32 s24, s24, exec_lo
	s_and_b32 s27, s25, exec_lo
	s_or_b32 s24, s24, s27
	s_andn2_b32 exec_lo, exec_lo, s23
	s_cbranch_execz .LBB2_64
.LBB2_60:                               ;   Parent Loop BB2_36 Depth=1
                                        ; =>  This Inner Loop Header: Depth=2
	s_add_i32 s26, s26, 1
	s_cmpk_lg_i32 s26, 0x2710
	s_cselect_b32 s27, -1, 0
	s_and_b32 vcc_lo, exec_lo, s27
	s_cbranch_vccz .LBB2_62
; %bb.61:                               ;   in Loop: Header=BB2_60 Depth=2
	s_mov_b32 s29, -1
	s_or_b32 s25, s25, exec_lo
	s_and_saveexec_b32 s28, s27
	s_cbranch_execz .LBB2_59
	s_branch .LBB2_63
	.p2align	6
.LBB2_62:                               ;   in Loop: Header=BB2_60 Depth=2
	s_trap 2
	ds_read_b64 v[18:19], v0
	s_andn2_b32 s27, s27, exec_lo
	s_mov_b32 s26, 0
	s_waitcnt lgkmcnt(0)
	flat_load_dword v18, v[18:19] glc dlc
	s_waitcnt vmcnt(0) lgkmcnt(0)
	buffer_gl1_inv
	buffer_gl0_inv
	v_cmp_eq_u32_e32 vcc_lo, 0, v18
	s_and_b32 s28, vcc_lo, exec_lo
	s_or_b32 s27, s27, s28
	s_mov_b32 s29, -1
	s_or_b32 s25, s25, exec_lo
	s_and_saveexec_b32 s28, s27
	s_cbranch_execz .LBB2_59
.LBB2_63:                               ;   in Loop: Header=BB2_60 Depth=2
	s_sleep 1
	s_trap 2
	ds_read_b64 v[18:19], v0
	s_waitcnt lgkmcnt(0)
	buffer_gl0_inv
	s_andn2_b32 s25, s25, exec_lo
	v_cmp_ge_u64_e32 vcc_lo, v[18:19], v[2:3]
	s_orn2_b32 s29, vcc_lo, exec_lo
	s_branch .LBB2_59
.LBB2_64:                               ;   in Loop: Header=BB2_36 Depth=1
	s_inst_prefetch 0x2
	s_or_b32 exec_lo, exec_lo, s23
	s_and_saveexec_b32 s23, s24
	s_xor_b32 s23, exec_lo, s23
	s_cbranch_execz .LBB2_66
; %bb.65:                               ;   in Loop: Header=BB2_36 Depth=1
	ds_write_b32 v0, v119
	s_trap 2
.LBB2_66:                               ;   in Loop: Header=BB2_36 Depth=1
	s_or_b32 exec_lo, exec_lo, s22
	;;#ASMSTART
	s_wakeup
	;;#ASMEND
.LBB2_67:                               ;   in Loop: Header=BB2_36 Depth=1
	s_or_b32 exec_lo, exec_lo, s12
.LBB2_68:                               ;   in Loop: Header=BB2_36 Depth=1
	s_andn2_saveexec_b32 s11, s11
	s_cbranch_execz .LBB2_70
; %bb.69:                               ;   in Loop: Header=BB2_36 Depth=1
	s_waitcnt vmcnt(0) lgkmcnt(0)
	s_waitcnt_vscnt null, 0x0
	buffer_gl1_inv
	buffer_gl0_inv
	s_barrier
.LBB2_70:                               ;   in Loop: Header=BB2_36 Depth=1
	s_or_b32 exec_lo, exec_lo, s11
.LBB2_71:                               ;   in Loop: Header=BB2_36 Depth=1
	s_or_b32 exec_lo, exec_lo, s10
	v_sub_nc_u32_e32 v46, v21, v101
	v_and_b32_e32 v85, 7, v22
	v_add_nc_u32_e32 v19, 1, v22
	v_mov_b32_e32 v80, v4
	v_cmp_lt_i32_e64 s10, 0, v46
	s_and_saveexec_b32 s12, s10
	s_cbranch_execz .LBB2_79
; %bb.72:                               ;   in Loop: Header=BB2_36 Depth=1
	v_mul_lo_u32 v83, v85, s18
	s_waitcnt vmcnt(0) lgkmcnt(0)
	v_ashrrev_i32_e32 v18, 31, v20
	v_mad_u64_u32 v[81:82], null, v30, v20, v[10:11]
	v_mul_lo_u32 v54, v100, v20
	v_mul_lo_u32 v80, v30, v20
	;; [unrolled: 1-line block ×3, first 2 shown]
	v_mov_b32_e32 v86, v46
	v_ashrrev_i32_e32 v84, 31, v83
	s_mov_b32 s22, 0
	v_add_lshl_u32 v87, v10, v80, 3
	v_lshlrev_b64 v[20:21], 4, v[83:84]
	v_add3_u32 v82, v54, v82, v18
	v_mov_b32_e32 v80, v4
	v_add_co_u32 v83, vcc_lo, v117, v20
	v_add_co_ci_u32_e64 v84, null, v118, v21, vcc_lo
	s_inst_prefetch 0x1
	s_branch .LBB2_74
	.p2align	6
.LBB2_73:                               ;   in Loop: Header=BB2_74 Depth=2
	s_or_b32 exec_lo, exec_lo, s11
	s_waitcnt vmcnt(0)
	v_alignbit_b32 v18, v97, v18, v87
	v_alignbit_b32 v20, v96, v97, v87
	v_mov_b32_e32 v21, v19
	v_sub_nc_u32_e32 v86, v86, v103
	v_add_co_u32 v81, vcc_lo, v81, v103
	v_add_co_ci_u32_e64 v82, null, 0, v82, vcc_lo
	global_store_dwordx4 v[83:84], v[18:21], off
	v_cmp_gt_i32_e32 vcc_lo, 1, v86
	v_add_co_u32 v83, s11, v83, v70
	v_add_nc_u32_e32 v80, v80, v1
	v_add_nc_u32_e32 v87, v87, v5
	v_add_co_ci_u32_e64 v84, null, v84, v71, s11
	s_or_b32 s22, vcc_lo, s22
	s_andn2_b32 exec_lo, exec_lo, s22
	s_cbranch_execz .LBB2_78
.LBB2_74:                               ;   Parent Loop BB2_36 Depth=1
                                        ; =>  This Inner Loop Header: Depth=2
	v_and_b32_e32 v20, -4, v81
	v_mov_b32_e32 v21, v82
	v_min_u32_e32 v54, 8, v86
	v_and_b32_e32 v96, 3, v81
	v_mov_b32_e32 v97, 0
	s_mov_b32 s11, exec_lo
	global_load_dword v18, v[20:21], off slc
	v_add_nc_u32_e32 v54, v96, v54
	v_mov_b32_e32 v96, 0
	v_cmpx_lt_u32_e32 4, v54
	s_cbranch_execz .LBB2_76
; %bb.75:                               ;   in Loop: Header=BB2_74 Depth=2
	global_load_dword v97, v[20:21], off offset:4 slc
.LBB2_76:                               ;   in Loop: Header=BB2_74 Depth=2
	s_or_b32 exec_lo, exec_lo, s11
	s_mov_b32 s11, exec_lo
	v_cmpx_lt_u64_e32 8, v[54:55]
	s_cbranch_execz .LBB2_73
; %bb.77:                               ;   in Loop: Header=BB2_74 Depth=2
	global_load_dword v96, v[20:21], off offset:8 slc
	s_branch .LBB2_73
.LBB2_78:                               ;   in Loop: Header=BB2_36 Depth=1
	s_inst_prefetch 0x2
	s_or_b32 exec_lo, exec_lo, s22
.LBB2_79:                               ;   in Loop: Header=BB2_36 Depth=1
	s_or_b32 exec_lo, exec_lo, s12
	v_and_b32_e32 v54, 0x7ffffff8, v22
	v_cmp_gt_i32_e64 s11, s18, v80
	v_cmp_eq_u64_e32 vcc_lo, 0x7ffffff8, v[54:55]
	s_and_b32 s11, vcc_lo, s11
	s_and_saveexec_b32 s12, s11
	s_cbranch_execz .LBB2_82
; %bb.80:                               ;   in Loop: Header=BB2_36 Depth=1
	s_waitcnt vmcnt(0) lgkmcnt(0)
	v_mul_lo_u32 v20, v85, s18
	v_ashrrev_i32_e32 v81, 31, v80
	v_mov_b32_e32 v18, v55
	s_mov_b32 s22, 0
	v_lshlrev_b64 v[81:82], 4, v[80:81]
	v_ashrrev_i32_e32 v21, 31, v20
	v_lshlrev_b64 v[20:21], 4, v[20:21]
	v_add_co_u32 v20, vcc_lo, v81, v20
	v_add_co_ci_u32_e64 v21, null, v82, v21, vcc_lo
	v_add_co_u32 v81, vcc_lo, v38, v20
	v_add_co_ci_u32_e64 v82, null, v39, v21, vcc_lo
.LBB2_81:                               ;   Parent Loop BB2_36 Depth=1
                                        ; =>  This Inner Loop Header: Depth=2
	v_mov_b32_e32 v20, v18
	v_add_nc_u32_e32 v80, v80, v1
	v_mov_b32_e32 v21, v19
	v_cmp_le_i32_e32 vcc_lo, s18, v80
	global_store_dwordx4 v[81:82], v[18:21], off
	v_add_co_u32 v81, s11, v81, v70
	v_add_co_ci_u32_e64 v82, null, v82, v71, s11
	s_or_b32 s22, vcc_lo, s22
	s_andn2_b32 exec_lo, exec_lo, s22
	s_cbranch_execnz .LBB2_81
.LBB2_82:                               ;   in Loop: Header=BB2_36 Depth=1
	s_or_b32 exec_lo, exec_lo, s12
	v_add_co_u32 v56, vcc_lo, v68, v26
	v_add_co_ci_u32_e64 v57, null, v69, v27, vcc_lo
	v_add_co_u32 v80, vcc_lo, v22, 1
	v_add_co_ci_u32_e64 v81, null, 0, v23, vcc_lo
	s_andn2_b32 vcc_lo, exec_lo, s21
	s_cbranch_vccnz .LBB2_356
; %bb.83:                               ;   in Loop: Header=BB2_36 Depth=1
	v_add_co_u32 v82, vcc_lo, v113, v56
	v_add_co_ci_u32_e64 v83, null, v114, v57, vcc_lo
	v_add_nc_u16 v58, v22, 1
	s_mov_b32 s22, 2
	s_branch .LBB2_85
.LBB2_84:                               ;   in Loop: Header=BB2_85 Depth=2
	s_or_b32 exec_lo, exec_lo, s12
	v_add_co_u32 v36, vcc_lo, v36, 1
	v_add_co_ci_u32_e64 v37, null, 0, v37, vcc_lo
	v_add_co_u32 v80, vcc_lo, v80, 1
	v_add_co_ci_u32_e64 v81, null, 0, v81, vcc_lo
	v_add_nc_u16 v58, v58, 1
	s_add_i32 s22, s22, 1
	s_cmp_eq_u32 s22, s14
	s_cbranch_scc1 .LBB2_356
.LBB2_85:                               ;   Parent Loop BB2_36 Depth=1
                                        ; =>  This Loop Header: Depth=2
                                        ;       Child Loop BB2_90 Depth 3
                                        ;       Child Loop BB2_109 Depth 3
	;; [unrolled: 1-line block ×3, first 2 shown]
                                        ;         Child Loop BB2_139 Depth 4
                                        ;       Child Loop BB2_345 Depth 3
                                        ;       Child Loop BB2_126 Depth 3
	s_sub_i32 s12, s14, s22
	s_lshl_b64 s[24:25], s[12:13], 2
	v_add_co_u32 v18, vcc_lo, v24, s24
	v_add_co_ci_u32_e64 v19, null, s25, v25, vcc_lo
	s_waitcnt vmcnt(0) lgkmcnt(0)
	flat_load_dword v20, v[18:19]
	s_and_saveexec_b32 s12, s5
	s_cbranch_execz .LBB2_101
; %bb.86:                               ;   in Loop: Header=BB2_85 Depth=2
	v_add_co_u32 v18, vcc_lo, v16, 1
	v_add_co_ci_u32_e64 v19, null, 0, v17, vcc_lo
	v_add_co_u32 v21, vcc_lo, v64, 8
	v_add_co_ci_u32_e64 v22, null, 0, v65, vcc_lo
	s_mov_b32 s23, exec_lo
	v_cmpx_lt_u64_e64 v[21:22], v[18:19]
	s_cbranch_execz .LBB2_98
; %bb.87:                               ;   in Loop: Header=BB2_85 Depth=2
	s_mov_b32 s24, 0
	s_mov_b32 s28, 0
	v_cmp_eq_u32_e32 vcc_lo, 0, v45
                                        ; implicit-def: $sgpr25
                                        ; implicit-def: $sgpr26
                                        ; implicit-def: $sgpr27
	s_branch .LBB2_90
.LBB2_88:                               ;   in Loop: Header=BB2_90 Depth=3
	s_or_b32 exec_lo, exec_lo, s43
	v_mov_b32_e32 v21, 0
	s_andn2_b32 s11, s27, exec_lo
	s_and_b32 s27, s41, exec_lo
	s_andn2_b32 s26, s26, exec_lo
	s_and_b32 s40, s40, exec_lo
	s_or_b32 s27, s11, s27
	s_or_b32 s26, s26, s40
.LBB2_89:                               ;   in Loop: Header=BB2_90 Depth=3
	s_or_b32 exec_lo, exec_lo, s29
	s_and_b32 s11, exec_lo, s26
	s_or_b32 s24, s11, s24
	s_andn2_b32 s11, s25, exec_lo
	s_and_b32 s25, s27, exec_lo
	s_or_b32 s25, s11, s25
	s_andn2_b32 exec_lo, exec_lo, s24
	s_cbranch_execz .LBB2_95
.LBB2_90:                               ;   Parent Loop BB2_36 Depth=1
                                        ;     Parent Loop BB2_85 Depth=2
                                        ; =>    This Inner Loop Header: Depth=3
	s_sleep 1
	s_waitcnt vmcnt(0) lgkmcnt(0)
	flat_load_dwordx2 v[64:65], v[52:53] glc dlc
	v_mov_b32_e32 v21, v45
	s_or_b32 s27, s27, exec_lo
	s_or_b32 s26, s26, exec_lo
                                        ; implicit-def: $vgpr17
	s_and_saveexec_b32 s29, vcc_lo
	s_cbranch_execz .LBB2_89
; %bb.91:                               ;   in Loop: Header=BB2_90 Depth=3
	s_add_i32 s28, s28, 1
	s_mov_b32 s40, -1
	s_cmpk_lg_i32 s28, 0x2710
	s_mov_b32 s41, -1
	s_cselect_b32 s42, -1, 0
	s_cmpk_eq_i32 s28, 0x2710
                                        ; implicit-def: $vgpr17
	s_cbranch_scc1 .LBB2_93
; %bb.92:                               ;   in Loop: Header=BB2_90 Depth=3
	s_and_saveexec_b32 s43, s42
	s_cbranch_execz .LBB2_88
	s_branch .LBB2_94
.LBB2_93:                               ;   in Loop: Header=BB2_90 Depth=3
	s_trap 2
	ds_read_b64 v[21:22], v0
	s_andn2_b32 s28, s42, exec_lo
	s_mov_b32 s41, 0
	s_waitcnt vmcnt(0) lgkmcnt(0)
	s_waitcnt_vscnt null, 0x0
	flat_load_dword v17, v[21:22] glc dlc
	s_waitcnt vmcnt(0) lgkmcnt(0)
	buffer_gl1_inv
	buffer_gl0_inv
	v_cmp_eq_u32_e64 s11, 0, v17
	s_and_b32 s11, s11, exec_lo
	s_or_b32 s42, s28, s11
	s_mov_b32 s28, 0
	s_and_saveexec_b32 s43, s42
	s_cbranch_execz .LBB2_88
.LBB2_94:                               ;   in Loop: Header=BB2_90 Depth=3
	s_waitcnt vmcnt(0) lgkmcnt(0)
	v_add_co_u32 v21, s11, v64, 8
	v_add_co_ci_u32_e64 v22, null, 0, v65, s11
	s_or_b32 s41, s41, exec_lo
	v_cmp_ge_u64_e64 s11, v[21:22], v[18:19]
	s_orn2_b32 s40, s11, exec_lo
	s_branch .LBB2_88
.LBB2_95:                               ;   in Loop: Header=BB2_85 Depth=2
	s_or_b32 exec_lo, exec_lo, s24
	s_xor_b32 s11, s25, -1
	s_and_saveexec_b32 s24, s11
	s_xor_b32 s11, exec_lo, s24
	s_cbranch_execz .LBB2_97
; %bb.96:                               ;   in Loop: Header=BB2_85 Depth=2
	v_mov_b32_e32 v21, 1
	s_waitcnt vmcnt(0) lgkmcnt(0)
	s_waitcnt_vscnt null, 0x0
	ds_write_b32 v0, v17
	s_trap 2
.LBB2_97:                               ;   in Loop: Header=BB2_85 Depth=2
	s_or_b32 exec_lo, exec_lo, s11
	v_mov_b32_e32 v45, v21
.LBB2_98:                               ;   in Loop: Header=BB2_85 Depth=2
	s_or_b32 exec_lo, exec_lo, s23
	s_and_saveexec_b32 s11, s6
	s_cbranch_execz .LBB2_100
; %bb.99:                               ;   in Loop: Header=BB2_85 Depth=2
	v_and_b32_e32 v54, 0x7ffffff8, v16
	v_and_b32_e32 v17, 7, v16
	v_cmp_eq_u64_e32 vcc_lo, 0x7ffffff8, v[54:55]
	v_mad_u64_u32 v[21:22], null, v17, 24, v[14:15]
	v_cndmask_b32_e64 v16, v47, s15, vcc_lo
	v_ashrrev_i32_e32 v17, 31, v16
	flat_store_dwordx2 v[21:22], v[16:17] offset:8
	s_waitcnt_vscnt null, 0x0
.LBB2_100:                              ;   in Loop: Header=BB2_85 Depth=2
	s_or_b32 exec_lo, exec_lo, s11
	v_mov_b32_e32 v16, v18
	v_mov_b32_e32 v17, v19
.LBB2_101:                              ;   in Loop: Header=BB2_85 Depth=2
	s_or_b32 exec_lo, exec_lo, s12
	s_and_saveexec_b32 s11, s7
	s_cbranch_execz .LBB2_120
; %bb.102:                              ;   in Loop: Header=BB2_85 Depth=2
	s_and_saveexec_b32 s12, s19
	s_xor_b32 s12, exec_lo, s12
	s_cbranch_execz .LBB2_117
; %bb.103:                              ;   in Loop: Header=BB2_85 Depth=2
	s_and_saveexec_b32 s23, s8
	s_cbranch_execz .LBB2_116
; %bb.104:                              ;   in Loop: Header=BB2_85 Depth=2
	s_mov_b32 s25, exec_lo
	s_mov_b32 s24, exec_lo
	v_mbcnt_lo_u32_b32 v18, s25, 0
	s_waitcnt vmcnt(0) lgkmcnt(0)
	s_waitcnt_vscnt null, 0x0
	buffer_gl1_inv
	buffer_gl0_inv
	v_cmpx_eq_u32_e32 0, v18
	s_cbranch_execz .LBB2_106
; %bb.105:                              ;   in Loop: Header=BB2_85 Depth=2
	s_bcnt1_i32_b32 s25, s25
	v_mov_b32_e32 v54, s25
	ds_add_u64 v0, v[54:55]
	s_trap 2
.LBB2_106:                              ;   in Loop: Header=BB2_85 Depth=2
	s_or_b32 exec_lo, exec_lo, s24
	s_trap 2
	ds_read_b64 v[18:19], v0
	s_waitcnt lgkmcnt(0)
	buffer_gl0_inv
	v_add_co_u32 v2, vcc_lo, v2, v102
	v_add_co_ci_u32_e64 v3, null, 0, v3, vcc_lo
	s_mov_b32 s24, exec_lo
	v_cmpx_lt_u64_e64 v[18:19], v[2:3]
	s_cbranch_execz .LBB2_115
; %bb.107:                              ;   in Loop: Header=BB2_85 Depth=2
	s_mov_b32 s25, 0
	s_mov_b32 s28, 0
                                        ; implicit-def: $sgpr26
                                        ; implicit-def: $sgpr27
	s_inst_prefetch 0x1
	s_branch .LBB2_109
	.p2align	6
.LBB2_108:                              ;   in Loop: Header=BB2_109 Depth=3
	s_or_b32 exec_lo, exec_lo, s40
	s_and_b32 s29, exec_lo, s41
	s_or_b32 s25, s29, s25
	s_andn2_b32 s26, s26, exec_lo
	s_and_b32 s29, s27, exec_lo
	s_or_b32 s26, s26, s29
	s_andn2_b32 exec_lo, exec_lo, s25
	s_cbranch_execz .LBB2_113
.LBB2_109:                              ;   Parent Loop BB2_36 Depth=1
                                        ;     Parent Loop BB2_85 Depth=2
                                        ; =>    This Inner Loop Header: Depth=3
	s_add_i32 s28, s28, 1
	s_cmpk_lg_i32 s28, 0x2710
	s_cselect_b32 s29, -1, 0
	s_and_b32 vcc_lo, exec_lo, s29
	s_cbranch_vccz .LBB2_111
; %bb.110:                              ;   in Loop: Header=BB2_109 Depth=3
	s_mov_b32 s41, -1
	s_or_b32 s27, s27, exec_lo
	s_and_saveexec_b32 s40, s29
	s_cbranch_execz .LBB2_108
	s_branch .LBB2_112
	.p2align	6
.LBB2_111:                              ;   in Loop: Header=BB2_109 Depth=3
	s_trap 2
	ds_read_b64 v[18:19], v0
	s_andn2_b32 s29, s29, exec_lo
	s_mov_b32 s28, 0
	s_waitcnt lgkmcnt(0)
	flat_load_dword v18, v[18:19] glc dlc
	s_waitcnt vmcnt(0) lgkmcnt(0)
	buffer_gl1_inv
	buffer_gl0_inv
	v_cmp_eq_u32_e32 vcc_lo, 0, v18
	s_and_b32 s40, vcc_lo, exec_lo
	s_or_b32 s29, s29, s40
	s_mov_b32 s41, -1
	s_or_b32 s27, s27, exec_lo
	s_and_saveexec_b32 s40, s29
	s_cbranch_execz .LBB2_108
.LBB2_112:                              ;   in Loop: Header=BB2_109 Depth=3
	s_sleep 1
	s_trap 2
	ds_read_b64 v[18:19], v0
	s_waitcnt lgkmcnt(0)
	buffer_gl0_inv
	s_andn2_b32 s27, s27, exec_lo
	v_cmp_ge_u64_e32 vcc_lo, v[18:19], v[2:3]
	s_orn2_b32 s41, vcc_lo, exec_lo
	s_branch .LBB2_108
.LBB2_113:                              ;   in Loop: Header=BB2_85 Depth=2
	s_inst_prefetch 0x2
	s_or_b32 exec_lo, exec_lo, s25
	s_and_saveexec_b32 s25, s26
	s_xor_b32 s25, exec_lo, s25
	s_cbranch_execz .LBB2_115
; %bb.114:                              ;   in Loop: Header=BB2_85 Depth=2
	ds_write_b32 v0, v119
	s_trap 2
.LBB2_115:                              ;   in Loop: Header=BB2_85 Depth=2
	s_or_b32 exec_lo, exec_lo, s24
	;;#ASMSTART
	s_wakeup
	;;#ASMEND
.LBB2_116:                              ;   in Loop: Header=BB2_85 Depth=2
	s_or_b32 exec_lo, exec_lo, s23
.LBB2_117:                              ;   in Loop: Header=BB2_85 Depth=2
	s_andn2_saveexec_b32 s12, s12
	s_cbranch_execz .LBB2_119
; %bb.118:                              ;   in Loop: Header=BB2_85 Depth=2
	s_waitcnt vmcnt(0) lgkmcnt(0)
	s_waitcnt_vscnt null, 0x0
	buffer_gl1_inv
	buffer_gl0_inv
	s_barrier
.LBB2_119:                              ;   in Loop: Header=BB2_85 Depth=2
	s_or_b32 exec_lo, exec_lo, s12
.LBB2_120:                              ;   in Loop: Header=BB2_85 Depth=2
	s_or_b32 exec_lo, exec_lo, s11
	v_add_nc_u32_e32 v19, 1, v80
	v_mov_b32_e32 v84, v4
	s_and_saveexec_b32 s12, s10
	s_cbranch_execnz .LBB2_127
; %bb.121:                              ;   in Loop: Header=BB2_85 Depth=2
	s_or_b32 exec_lo, exec_lo, s12
	s_and_saveexec_b32 s11, s7
	s_cbranch_execnz .LBB2_338
.LBB2_122:                              ;   in Loop: Header=BB2_85 Depth=2
	s_or_b32 exec_lo, exec_lo, s11
	s_and_saveexec_b32 s11, s9
	s_cbranch_execz .LBB2_124
.LBB2_123:                              ;   in Loop: Header=BB2_85 Depth=2
	v_add_co_u32 v48, vcc_lo, v48, 1
	v_add_co_ci_u32_e64 v49, null, 0, v49, vcc_lo
	s_waitcnt vmcnt(0) lgkmcnt(0)
	s_waitcnt_vscnt null, 0x0
	flat_store_dwordx2 v[50:51], v[48:49]
.LBB2_124:                              ;   in Loop: Header=BB2_85 Depth=2
	s_or_b32 exec_lo, exec_lo, s11
	v_and_b32_e32 v54, 0x7ffffff8, v80
	v_cmp_gt_i32_e64 s11, s18, v84
	v_cmp_eq_u64_e32 vcc_lo, 0x7ffffff8, v[54:55]
	s_and_b32 s11, vcc_lo, s11
	s_and_saveexec_b32 s12, s11
	s_cbranch_execz .LBB2_84
; %bb.125:                              ;   in Loop: Header=BB2_85 Depth=2
	v_and_b32_e32 v18, 7, v58
	v_ashrrev_i32_e32 v85, 31, v84
	s_mov_b32 s23, 0
	s_waitcnt vmcnt(0) lgkmcnt(0)
	v_mul_lo_u32 v20, s18, v18
	v_lshlrev_b64 v[22:23], 4, v[84:85]
	v_mov_b32_e32 v18, v55
	v_ashrrev_i32_e32 v21, 31, v20
	v_lshlrev_b64 v[20:21], 4, v[20:21]
	v_add_co_u32 v20, vcc_lo, v22, v20
	v_add_co_ci_u32_e64 v21, null, v23, v21, vcc_lo
	v_add_co_u32 v22, vcc_lo, v38, v20
	v_add_co_ci_u32_e64 v23, null, v39, v21, vcc_lo
.LBB2_126:                              ;   Parent Loop BB2_36 Depth=1
                                        ;     Parent Loop BB2_85 Depth=2
                                        ; =>    This Inner Loop Header: Depth=3
	v_mov_b32_e32 v20, v18
	v_add_nc_u32_e32 v84, v84, v1
	v_mov_b32_e32 v21, v19
	v_cmp_le_i32_e32 vcc_lo, s18, v84
	global_store_dwordx4 v[22:23], v[18:21], off
	v_add_co_u32 v22, s11, v22, v70
	v_add_co_ci_u32_e64 v23, null, v23, v71, s11
	s_or_b32 s23, vcc_lo, s23
	s_andn2_b32 exec_lo, exec_lo, s23
	s_cbranch_execnz .LBB2_126
	s_branch .LBB2_84
.LBB2_127:                              ;   in Loop: Header=BB2_85 Depth=2
	v_and_b32_e32 v18, 7, v36
	v_and_b32_e32 v22, 7, v80
	s_waitcnt vmcnt(0) lgkmcnt(0)
	v_mad_u64_u32 v[86:87], null, v30, v20, v[82:83]
	v_mul_lo_u32 v23, v100, v20
	v_mul_lo_u32 v21, v18, s18
	v_ashrrev_i32_e32 v18, 31, v20
	v_mul_lo_u32 v84, v22, s18
	v_add_nc_u32_e32 v59, 1, v36
	v_mov_b32_e32 v60, v46
	s_mov_b32 s23, 0
	v_mul_lo_u32 v18, v30, v18
	v_ashrrev_i32_e32 v22, 31, v21
	v_ashrrev_i32_e32 v85, 31, v84
	v_lshlrev_b64 v[20:21], 4, v[21:22]
	v_add3_u32 v87, v23, v87, v18
	v_lshlrev_b64 v[22:23], 4, v[84:85]
	v_mov_b32_e32 v84, v4
	v_add_co_u32 v61, vcc_lo, v34, v20
	v_add_co_ci_u32_e64 v62, null, v35, v21, vcc_lo
	v_add_co_u32 v63, vcc_lo, v38, v22
	v_add_co_ci_u32_e64 v72, null, v39, v23, vcc_lo
	s_branch .LBB2_131
.LBB2_128:                              ;   in Loop: Header=BB2_131 Depth=3
	s_or_b32 exec_lo, exec_lo, s11
	v_lshrrev_b32_e32 v73, 21, v73
	v_min_i32_e32 v74, 31, v54
	v_cmp_gt_i32_e32 vcc_lo, 32, v54
	v_and_b32_sdwa v22, v22, v41 dst_sel:DWORD dst_unused:UNUSED_PAD src0_sel:BYTE_3 src1_sel:DWORD
	v_lshlrev_b32_e32 v74, 2, v74
	v_cndmask_b32_e32 v73, 3, v73, vcc_lo
	v_and_b32_e32 v74, 0xfc, v74
	v_and_b32_e32 v75, 3, v73
	v_or_b32_e32 v54, v54, v73
	v_or3_b32 v22, v22, v74, v75
	v_cmp_ne_u32_e32 vcc_lo, 0, v54
	v_lshlrev_b32_e32 v22, 8, v22
	v_cndmask_b32_e32 v54, 0, v22, vcc_lo
.LBB2_129:                              ;   in Loop: Header=BB2_131 Depth=3
	s_or_b32 exec_lo, exec_lo, s25
.LBB2_130:                              ;   in Loop: Header=BB2_131 Depth=3
	s_or_b32 exec_lo, exec_lo, s24
	v_sub_nc_u32_e32 v60, v60, v103
	v_add_co_u32 v86, vcc_lo, v86, v103
	v_or_b32_e32 v18, v21, v18
	v_or_b32_sdwa v20, v20, v23 dst_sel:WORD_1 dst_unused:UNUSED_PAD src0_sel:DWORD src1_sel:DWORD
	v_or_b32_e32 v21, v98, v85
	v_or_b32_sdwa v54, v54, v99 dst_sel:WORD_1 dst_unused:UNUSED_PAD src0_sel:DWORD src1_sel:DWORD
	v_add_co_ci_u32_e64 v87, null, 0, v87, vcc_lo
	v_add_co_u32 v22, vcc_lo, v63, v96
	v_add_co_ci_u32_e64 v23, null, v72, v97, vcc_lo
	v_cmp_gt_i32_e32 vcc_lo, 1, v60
	v_or3_b32 v18, v18, v20, 0
	v_or3_b32 v20, v21, v54, 0
	v_mov_b32_e32 v21, v19
	v_add_nc_u32_e32 v84, v84, v1
	s_or_b32 s23, vcc_lo, s23
	global_store_dwordx4 v[22:23], v[18:21], off
	s_andn2_b32 exec_lo, exec_lo, s23
	s_cbranch_execz .LBB2_337
.LBB2_131:                              ;   Parent Loop BB2_36 Depth=1
                                        ;     Parent Loop BB2_85 Depth=2
                                        ; =>    This Loop Header: Depth=3
                                        ;         Child Loop BB2_139 Depth 4
	v_and_b32_e32 v20, -4, v86
	v_mov_b32_e32 v21, v87
	v_min_u32_e32 v22, 8, v60
	v_and_b32_e32 v23, 3, v86
	v_mov_b32_e32 v73, 0
	v_mov_b32_e32 v74, 0
	global_load_dword v18, v[20:21], off slc
	s_mov_b32 s11, exec_lo
	v_add_nc_u32_e32 v54, v23, v22
	v_cmpx_lt_u32_e32 4, v54
	s_cbranch_execz .LBB2_133
; %bb.132:                              ;   in Loop: Header=BB2_131 Depth=3
	global_load_dword v74, v[20:21], off offset:4 slc
.LBB2_133:                              ;   in Loop: Header=BB2_131 Depth=3
	s_or_b32 exec_lo, exec_lo, s11
	s_mov_b32 s11, exec_lo
	v_cmpx_lt_u64_e32 8, v[54:55]
	s_cbranch_execz .LBB2_135
; %bb.134:                              ;   in Loop: Header=BB2_131 Depth=3
	global_load_dword v73, v[20:21], off offset:8 slc
.LBB2_135:                              ;   in Loop: Header=BB2_131 Depth=3
	s_or_b32 exec_lo, exec_lo, s11
	v_ashrrev_i32_e32 v85, 31, v84
	s_mov_b32 s24, exec_lo
	v_lshlrev_b64 v[96:97], 4, v[84:85]
	v_add_co_u32 v98, vcc_lo, v61, v96
	v_add_co_ci_u32_e64 v99, null, v62, v97, vcc_lo
	global_load_dwordx4 v[20:23], v[98:99], off slc
	v_cmpx_eq_u32_e32 0, v45
	s_cbranch_execz .LBB2_147
; %bb.136:                              ;   in Loop: Header=BB2_131 Depth=3
	s_waitcnt vmcnt(0)
	v_cmp_ne_u32_e32 vcc_lo, v59, v21
	v_cmp_ne_u32_e64 s11, v59, v23
	v_mov_b32_e32 v45, 0
	s_or_b32 s11, vcc_lo, s11
	s_and_saveexec_b32 s25, s11
	s_cbranch_execz .LBB2_146
; %bb.137:                              ;   in Loop: Header=BB2_131 Depth=3
	s_mov_b32 s29, 1
	s_mov_b32 s27, 0
                                        ; implicit-def: $sgpr26
                                        ; implicit-def: $sgpr28
	s_inst_prefetch 0x1
	s_branch .LBB2_139
	.p2align	6
.LBB2_138:                              ;   in Loop: Header=BB2_139 Depth=4
	s_or_b32 exec_lo, exec_lo, s41
	s_and_b32 s11, exec_lo, s11
	s_or_b32 s27, s11, s27
	s_andn2_b32 s11, s26, exec_lo
	s_and_b32 s26, s28, exec_lo
	s_or_b32 s26, s11, s26
	s_andn2_b32 exec_lo, exec_lo, s27
	s_cbranch_execz .LBB2_143
.LBB2_139:                              ;   Parent Loop BB2_36 Depth=1
                                        ;     Parent Loop BB2_85 Depth=2
                                        ;       Parent Loop BB2_131 Depth=3
                                        ; =>      This Inner Loop Header: Depth=4
	global_load_dwordx4 v[20:23], v[98:99], off slc
	s_add_i32 s29, s29, 1
	s_mov_b32 s11, -1
	s_cmpk_lg_i32 s29, 0x2710
	s_mov_b32 s40, -1
                                        ; implicit-def: $vgpr54
	s_cbranch_scc0 .LBB2_141
; %bb.140:                              ;   in Loop: Header=BB2_139 Depth=4
	s_or_b32 s28, s28, exec_lo
	s_and_saveexec_b32 s41, s40
	s_cbranch_execz .LBB2_138
	s_branch .LBB2_142
	.p2align	6
.LBB2_141:                              ;   in Loop: Header=BB2_139 Depth=4
	s_trap 2
	ds_read_b64 v[75:76], v0
	s_mov_b32 s29, 0
	s_waitcnt vmcnt(0) lgkmcnt(0)
	s_waitcnt_vscnt null, 0x0
	flat_load_dword v54, v[75:76] glc dlc
	s_waitcnt vmcnt(0) lgkmcnt(0)
	buffer_gl1_inv
	buffer_gl0_inv
	v_cmp_eq_u32_e32 vcc_lo, 0, v54
	s_orn2_b32 s40, vcc_lo, exec_lo
	s_or_b32 s28, s28, exec_lo
	s_and_saveexec_b32 s41, s40
	s_cbranch_execz .LBB2_138
.LBB2_142:                              ;   in Loop: Header=BB2_139 Depth=4
	s_waitcnt vmcnt(0)
	v_cmp_eq_u32_e32 vcc_lo, v59, v21
	v_cmp_eq_u32_e64 s11, v59, v23
	s_andn2_b32 s28, s28, exec_lo
	s_and_b32 s11, vcc_lo, s11
	s_orn2_b32 s11, s11, exec_lo
	s_branch .LBB2_138
.LBB2_143:                              ;   in Loop: Header=BB2_131 Depth=3
	s_inst_prefetch 0x2
	s_or_b32 exec_lo, exec_lo, s27
	v_mov_b32_e32 v45, 0
	s_and_saveexec_b32 s11, s26
	s_xor_b32 s11, exec_lo, s11
	s_cbranch_execz .LBB2_145
; %bb.144:                              ;   in Loop: Header=BB2_131 Depth=3
	v_mov_b32_e32 v45, 1
	s_waitcnt vmcnt(0)
	s_waitcnt_vscnt null, 0x0
	ds_write_b32 v0, v54
	s_trap 2
.LBB2_145:                              ;   in Loop: Header=BB2_131 Depth=3
	s_or_b32 exec_lo, exec_lo, s11
.LBB2_146:                              ;   in Loop: Header=BB2_131 Depth=3
	s_or_b32 exec_lo, exec_lo, s25
.LBB2_147:                              ;   in Loop: Header=BB2_131 Depth=3
	s_or_b32 exec_lo, exec_lo, s24
	s_waitcnt vmcnt(0)
	v_cmp_gt_i16_sdwa s24, v20, v40 src0_sel:BYTE_0 src1_sel:DWORD
	s_mov_b32 s11, 0
	s_and_saveexec_b32 s25, s24
	s_xor_b32 s24, exec_lo, s25
	s_cbranch_execnz .LBB2_273
; %bb.148:                              ;   in Loop: Header=BB2_131 Depth=3
	s_or_saveexec_b32 s24, s24
	v_mov_b32_e32 v21, 0x7f800001
	s_xor_b32 exec_lo, exec_lo, s24
	s_cbranch_execnz .LBB2_276
.LBB2_149:                              ;   in Loop: Header=BB2_131 Depth=3
	s_or_b32 exec_lo, exec_lo, s24
	s_and_saveexec_b32 s24, s11
	s_cbranch_execz .LBB2_151
.LBB2_150:                              ;   in Loop: Header=BB2_131 Depth=3
	v_and_b32_e32 v21, 3, v20
	v_bfe_u32 v85, v20, 2, 5
	v_lshlrev_b32_e32 v98, 24, v20
	v_ffbh_u32_e32 v23, v21
	v_cmp_eq_u32_e32 vcc_lo, 0, v85
	v_min_u32_e32 v23, 32, v23
	v_subrev_nc_u32_e32 v54, 29, v23
	v_sub_nc_u32_e32 v23, 30, v23
	v_lshlrev_b32_e32 v54, v54, v20
	v_cndmask_b32_e32 v23, v85, v23, vcc_lo
	v_and_b32_e32 v54, 3, v54
	v_lshl_add_u32 v23, v23, 23, 0x37800000
	v_cndmask_b32_e32 v21, v21, v54, vcc_lo
	v_and_b32_e32 v54, 0x80000000, v98
	v_lshlrev_b32_e32 v21, 21, v21
	v_or3_b32 v21, v54, v23, v21
.LBB2_151:                              ;   in Loop: Header=BB2_131 Depth=3
	s_or_b32 exec_lo, exec_lo, s24
	v_lshlrev_b32_e32 v54, 3, v86
	s_mov_b32 s11, 0
	v_alignbit_b32 v85, v74, v18, v54
	v_cmp_gt_i16_sdwa s24, v85, v40 src0_sel:BYTE_0 src1_sel:DWORD
	s_and_saveexec_b32 s25, s24
	s_xor_b32 s24, exec_lo, s25
	s_cbranch_execnz .LBB2_277
; %bb.152:                              ;   in Loop: Header=BB2_131 Depth=3
	s_or_saveexec_b32 s24, s24
	v_mov_b32_e32 v18, 0x7f800001
	s_xor_b32 exec_lo, exec_lo, s24
	s_cbranch_execnz .LBB2_280
.LBB2_153:                              ;   in Loop: Header=BB2_131 Depth=3
	s_or_b32 exec_lo, exec_lo, s24
	s_and_saveexec_b32 s24, s11
	s_cbranch_execz .LBB2_155
.LBB2_154:                              ;   in Loop: Header=BB2_131 Depth=3
	v_and_b32_e32 v18, 3, v85
	v_bfe_u32 v99, v85, 2, 5
	v_lshlrev_b32_e32 v75, 24, v85
	v_ffbh_u32_e32 v23, v18
	v_cmp_eq_u32_e32 vcc_lo, 0, v99
	v_min_u32_e32 v23, 32, v23
	v_subrev_nc_u32_e32 v98, 29, v23
	v_sub_nc_u32_e32 v23, 30, v23
	v_lshlrev_b32_e32 v98, v98, v85
	v_cndmask_b32_e32 v23, v99, v23, vcc_lo
	v_and_b32_e32 v98, 3, v98
	v_lshl_add_u32 v23, v23, 23, 0x37800000
	v_cndmask_b32_e32 v18, v18, v98, vcc_lo
	v_and_b32_e32 v98, 0x80000000, v75
	v_lshlrev_b32_e32 v18, 21, v18
	v_or3_b32 v18, v98, v23, v18
.LBB2_155:                              ;   in Loop: Header=BB2_131 Depth=3
	s_or_b32 exec_lo, exec_lo, s24
	v_mul_f32_e32 v21, v21, v18
	v_and_b32_e32 v18, 0x7f800000, v21
	v_cmp_ne_u32_e32 vcc_lo, 0x7f800000, v18
	v_mov_b32_e32 v18, 0x80
	s_and_saveexec_b32 s24, vcc_lo
	s_cbranch_execz .LBB2_163
; %bb.156:                              ;   in Loop: Header=BB2_131 Depth=3
	v_mov_b32_e32 v18, 0
	s_mov_b32 s25, exec_lo
	v_cmpx_ne_u32_e32 0, v21
	s_cbranch_execz .LBB2_162
; %bb.157:                              ;   in Loop: Header=BB2_131 Depth=3
	v_bfe_u32 v18, v21, 23, 8
	v_and_b32_e32 v23, 0x7fffff, v21
	v_sub_nc_u32_e32 v98, 0x70, v18
	v_cmp_gt_u32_e32 vcc_lo, 0x71, v18
	v_or_b32_e32 v99, 0x800000, v23
	v_cndmask_b32_e32 v98, 0, v98, vcc_lo
	v_cmp_eq_u32_e32 vcc_lo, 0, v18
	v_add_nc_u32_e32 v18, 0xffffff91, v18
	v_cndmask_b32_e64 v98, v98, 0x6f, vcc_lo
	v_cndmask_b32_e32 v23, v99, v23, vcc_lo
	v_cndmask_b32_e64 v18, v18, 0xffffff92, vcc_lo
	v_lshl_add_u32 v99, 0x200000, v98, -1
	v_lshrrev_b32_e32 v75, v98, v23
	v_lshlrev_b32_e64 v77, v98, 0x100000
	v_add_nc_u32_e32 v98, v98, v18
	v_and_b32_e32 v23, v99, v23
	v_bfe_u32 v76, v75, 21, 1
	v_cmp_eq_u32_e64 s11, v23, v77
	v_add_nc_u32_e32 v99, -1, v76
	v_cndmask_b32_e64 v23, 0, v99, s11
	v_lshrrev_b32_e32 v99, 23, v75
	s_mov_b32 s11, exec_lo
	v_add_nc_u32_e32 v23, v23, v75
	v_xor_b32_e32 v99, 1, v99
	v_and_b32_e32 v18, 0x1fffff, v23
	v_add_nc_u32_e32 v23, v18, v75
                                        ; implicit-def: $vgpr18
	v_cmpx_ne_u32_e64 v98, v99
	s_xor_b32 s11, exec_lo, s11
; %bb.158:                              ;   in Loop: Header=BB2_131 Depth=3
	v_cmp_lt_u32_e32 vcc_lo, 0xffffff, v23
	v_sub_nc_u32_e32 v18, v98, v99
	v_cndmask_b32_e64 v98, 0, 1, vcc_lo
	v_add_co_ci_u32_e64 v18, null, 0, v18, vcc_lo
	v_lshrrev_b32_e32 v23, v98, v23
; %bb.159:                              ;   in Loop: Header=BB2_131 Depth=3
	s_andn2_saveexec_b32 s11, s11
; %bb.160:                              ;   in Loop: Header=BB2_131 Depth=3
	v_bfe_u32 v18, v23, 23, 1
; %bb.161:                              ;   in Loop: Header=BB2_131 Depth=3
	s_or_b32 exec_lo, exec_lo, s11
	v_lshrrev_b32_e32 v23, 21, v23
	v_min_i32_e32 v98, 31, v18
	v_cmp_gt_i32_e32 vcc_lo, 32, v18
	v_and_b32_sdwa v21, v21, v41 dst_sel:DWORD dst_unused:UNUSED_PAD src0_sel:BYTE_3 src1_sel:DWORD
	v_lshlrev_b32_e32 v98, 2, v98
	v_cndmask_b32_e32 v23, 3, v23, vcc_lo
	v_and_b32_e32 v98, 0xfc, v98
	v_and_b32_e32 v99, 3, v23
	v_or_b32_e32 v18, v18, v23
	v_or3_b32 v21, v98, v21, v99
	v_cmp_ne_u32_e32 vcc_lo, 0, v18
	v_cndmask_b32_e32 v18, 0, v21, vcc_lo
.LBB2_162:                              ;   in Loop: Header=BB2_131 Depth=3
	s_or_b32 exec_lo, exec_lo, s25
.LBB2_163:                              ;   in Loop: Header=BB2_131 Depth=3
	s_or_b32 exec_lo, exec_lo, s24
	v_cmp_gt_i16_sdwa s24, v20, v40 src0_sel:BYTE_1 src1_sel:DWORD
	s_mov_b32 s11, 0
	s_and_saveexec_b32 s25, s24
	s_xor_b32 s24, exec_lo, s25
	s_cbranch_execnz .LBB2_281
; %bb.164:                              ;   in Loop: Header=BB2_131 Depth=3
	s_or_saveexec_b32 s24, s24
	v_mov_b32_e32 v21, 0x7f800001
	s_xor_b32 exec_lo, exec_lo, s24
	s_cbranch_execnz .LBB2_284
.LBB2_165:                              ;   in Loop: Header=BB2_131 Depth=3
	s_or_b32 exec_lo, exec_lo, s24
	s_and_saveexec_b32 s24, s11
	s_cbranch_execz .LBB2_167
.LBB2_166:                              ;   in Loop: Header=BB2_131 Depth=3
	v_and_b32_sdwa v21, v42, v20 dst_sel:DWORD dst_unused:UNUSED_PAD src0_sel:DWORD src1_sel:BYTE_1
	v_and_b32_e32 v23, 3, v21
	v_bfe_u32 v75, v21, 2, 5
	v_ffbh_u32_e32 v98, v23
	v_cmp_eq_u32_e32 vcc_lo, 0, v75
	v_min_u32_e32 v98, 32, v98
	v_subrev_nc_u32_e32 v99, 29, v98
	v_sub_nc_u32_e32 v98, 30, v98
	v_lshlrev_b32_e32 v21, v99, v21
	v_lshlrev_b32_sdwa v99, v43, v20 dst_sel:DWORD dst_unused:UNUSED_PAD src0_sel:DWORD src1_sel:BYTE_1
	v_cndmask_b32_e32 v98, v75, v98, vcc_lo
	v_and_b32_e32 v21, 3, v21
	v_lshl_add_u32 v98, v98, 23, 0x37800000
	v_cndmask_b32_e32 v21, v23, v21, vcc_lo
	v_and_b32_e32 v23, 0x80000000, v99
	v_lshlrev_b32_e32 v21, 21, v21
	v_or3_b32 v21, v23, v98, v21
.LBB2_167:                              ;   in Loop: Header=BB2_131 Depth=3
	s_or_b32 exec_lo, exec_lo, s24
	v_cmp_gt_i16_sdwa s24, v85, v40 src0_sel:BYTE_1 src1_sel:DWORD
	s_mov_b32 s11, 0
	s_and_saveexec_b32 s25, s24
	s_xor_b32 s24, exec_lo, s25
	s_cbranch_execnz .LBB2_285
; %bb.168:                              ;   in Loop: Header=BB2_131 Depth=3
	s_or_saveexec_b32 s24, s24
	v_mov_b32_e32 v23, 0x7f800001
	s_xor_b32 exec_lo, exec_lo, s24
	s_cbranch_execnz .LBB2_288
.LBB2_169:                              ;   in Loop: Header=BB2_131 Depth=3
	s_or_b32 exec_lo, exec_lo, s24
	s_and_saveexec_b32 s24, s11
	s_cbranch_execz .LBB2_171
.LBB2_170:                              ;   in Loop: Header=BB2_131 Depth=3
	v_and_b32_sdwa v23, v42, v85 dst_sel:DWORD dst_unused:UNUSED_PAD src0_sel:DWORD src1_sel:BYTE_1
	v_and_b32_e32 v98, 3, v23
	v_bfe_u32 v76, v23, 2, 5
	v_ffbh_u32_e32 v99, v98
	v_cmp_eq_u32_e32 vcc_lo, 0, v76
	v_min_u32_e32 v99, 32, v99
	v_subrev_nc_u32_e32 v75, 29, v99
	v_sub_nc_u32_e32 v99, 30, v99
	v_lshlrev_b32_e32 v23, v75, v23
	v_lshlrev_b32_sdwa v75, v43, v85 dst_sel:DWORD dst_unused:UNUSED_PAD src0_sel:DWORD src1_sel:BYTE_1
	v_cndmask_b32_e32 v99, v76, v99, vcc_lo
	v_and_b32_e32 v23, 3, v23
	v_lshl_add_u32 v99, v99, 23, 0x37800000
	v_cndmask_b32_e32 v23, v98, v23, vcc_lo
	v_and_b32_e32 v98, 0x80000000, v75
	v_lshlrev_b32_e32 v23, 21, v23
	v_or3_b32 v23, v98, v99, v23
.LBB2_171:                              ;   in Loop: Header=BB2_131 Depth=3
	s_or_b32 exec_lo, exec_lo, s24
	v_mul_f32_e32 v23, v21, v23
	v_and_b32_e32 v21, 0x7f800000, v23
	v_cmp_ne_u32_e32 vcc_lo, 0x7f800000, v21
	v_mov_b32_e32 v21, 0x8000
	s_and_saveexec_b32 s24, vcc_lo
	s_cbranch_execz .LBB2_179
; %bb.172:                              ;   in Loop: Header=BB2_131 Depth=3
	v_mov_b32_e32 v21, 0
	s_mov_b32 s25, exec_lo
	v_cmpx_ne_u32_e32 0, v23
	s_cbranch_execz .LBB2_178
; %bb.173:                              ;   in Loop: Header=BB2_131 Depth=3
	v_bfe_u32 v21, v23, 23, 8
	v_and_b32_e32 v98, 0x7fffff, v23
	v_sub_nc_u32_e32 v99, 0x70, v21
	v_cmp_gt_u32_e32 vcc_lo, 0x71, v21
	v_or_b32_e32 v75, 0x800000, v98
	v_cndmask_b32_e32 v99, 0, v99, vcc_lo
	v_cmp_eq_u32_e32 vcc_lo, 0, v21
	v_add_nc_u32_e32 v21, 0xffffff91, v21
	v_cndmask_b32_e64 v99, v99, 0x6f, vcc_lo
	v_cndmask_b32_e32 v98, v75, v98, vcc_lo
	v_cndmask_b32_e64 v21, v21, 0xffffff92, vcc_lo
	v_lshl_add_u32 v75, 0x200000, v99, -1
	v_lshrrev_b32_e32 v76, v99, v98
	v_lshlrev_b32_e64 v78, v99, 0x100000
	v_add_nc_u32_e32 v99, v99, v21
	v_and_b32_e32 v98, v75, v98
	v_bfe_u32 v77, v76, 21, 1
	v_cmp_eq_u32_e64 s11, v98, v78
	v_add_nc_u32_e32 v75, -1, v77
	v_cndmask_b32_e64 v98, 0, v75, s11
	v_lshrrev_b32_e32 v75, 23, v76
	s_mov_b32 s11, exec_lo
	v_add_nc_u32_e32 v98, v98, v76
	v_xor_b32_e32 v75, 1, v75
	v_and_b32_e32 v21, 0x1fffff, v98
	v_add_nc_u32_e32 v98, v21, v76
                                        ; implicit-def: $vgpr21
	v_cmpx_ne_u32_e64 v99, v75
	s_xor_b32 s11, exec_lo, s11
; %bb.174:                              ;   in Loop: Header=BB2_131 Depth=3
	v_cmp_lt_u32_e32 vcc_lo, 0xffffff, v98
	v_sub_nc_u32_e32 v21, v99, v75
	v_cndmask_b32_e64 v99, 0, 1, vcc_lo
	v_add_co_ci_u32_e64 v21, null, 0, v21, vcc_lo
	v_lshrrev_b32_e32 v98, v99, v98
; %bb.175:                              ;   in Loop: Header=BB2_131 Depth=3
	s_andn2_saveexec_b32 s11, s11
; %bb.176:                              ;   in Loop: Header=BB2_131 Depth=3
	v_bfe_u32 v21, v98, 23, 1
; %bb.177:                              ;   in Loop: Header=BB2_131 Depth=3
	s_or_b32 exec_lo, exec_lo, s11
	v_lshrrev_b32_e32 v98, 21, v98
	v_min_i32_e32 v99, 31, v21
	v_cmp_gt_i32_e32 vcc_lo, 32, v21
	v_and_b32_sdwa v23, v23, v41 dst_sel:DWORD dst_unused:UNUSED_PAD src0_sel:BYTE_3 src1_sel:DWORD
	v_lshlrev_b32_e32 v99, 2, v99
	v_cndmask_b32_e32 v98, 3, v98, vcc_lo
	v_and_b32_e32 v99, 0xfc, v99
	v_and_b32_e32 v75, 3, v98
	v_or_b32_e32 v21, v21, v98
	v_or3_b32 v23, v23, v99, v75
	v_cmp_ne_u32_e32 vcc_lo, 0, v21
	v_lshlrev_b32_e32 v23, 8, v23
	v_cndmask_b32_e32 v21, 0, v23, vcc_lo
.LBB2_178:                              ;   in Loop: Header=BB2_131 Depth=3
	s_or_b32 exec_lo, exec_lo, s25
.LBB2_179:                              ;   in Loop: Header=BB2_131 Depth=3
	s_or_b32 exec_lo, exec_lo, s24
	v_and_b32_sdwa v98, v20, v44 dst_sel:DWORD dst_unused:UNUSED_PAD src0_sel:WORD_1 src1_sel:DWORD
	s_mov_b32 s11, 0
	s_mov_b32 s24, exec_lo
	v_cmpx_lt_i16_e32 0x7f, v98
	s_xor_b32 s24, exec_lo, s24
	s_cbranch_execnz .LBB2_289
; %bb.180:                              ;   in Loop: Header=BB2_131 Depth=3
	s_or_saveexec_b32 s24, s24
	v_mov_b32_e32 v23, 0x7f800001
	s_xor_b32 exec_lo, exec_lo, s24
	s_cbranch_execnz .LBB2_292
.LBB2_181:                              ;   in Loop: Header=BB2_131 Depth=3
	s_or_b32 exec_lo, exec_lo, s24
	s_and_saveexec_b32 s24, s11
	s_cbranch_execz .LBB2_183
.LBB2_182:                              ;   in Loop: Header=BB2_131 Depth=3
	v_bfe_u32 v23, v20, 16, 2
	v_bfe_u32 v75, v20, 18, 5
	v_lshlrev_b32_e32 v76, 8, v20
	v_ffbh_u32_e32 v98, v23
	v_cmp_eq_u32_e32 vcc_lo, 0, v75
	v_min_u32_e32 v98, 32, v98
	v_subrev_nc_u32_e32 v99, 29, v98
	v_sub_nc_u32_e32 v98, 30, v98
	v_lshlrev_b32_sdwa v99, v99, v20 dst_sel:DWORD dst_unused:UNUSED_PAD src0_sel:DWORD src1_sel:WORD_1
	v_cndmask_b32_e32 v98, v75, v98, vcc_lo
	v_and_b32_e32 v99, 3, v99
	v_lshl_add_u32 v98, v98, 23, 0x37800000
	v_cndmask_b32_e32 v23, v23, v99, vcc_lo
	v_and_b32_e32 v99, 0x80000000, v76
	v_lshlrev_b32_e32 v23, 21, v23
	v_or3_b32 v23, v99, v98, v23
.LBB2_183:                              ;   in Loop: Header=BB2_131 Depth=3
	s_or_b32 exec_lo, exec_lo, s24
	v_and_b32_sdwa v99, v85, v44 dst_sel:DWORD dst_unused:UNUSED_PAD src0_sel:WORD_1 src1_sel:DWORD
	s_mov_b32 s11, 0
	s_mov_b32 s24, exec_lo
	v_cmpx_lt_i16_e32 0x7f, v99
	s_xor_b32 s24, exec_lo, s24
	s_cbranch_execnz .LBB2_293
; %bb.184:                              ;   in Loop: Header=BB2_131 Depth=3
	s_or_saveexec_b32 s24, s24
	v_mov_b32_e32 v98, 0x7f800001
	s_xor_b32 exec_lo, exec_lo, s24
	s_cbranch_execnz .LBB2_296
.LBB2_185:                              ;   in Loop: Header=BB2_131 Depth=3
	s_or_b32 exec_lo, exec_lo, s24
	s_and_saveexec_b32 s24, s11
	s_cbranch_execz .LBB2_187
.LBB2_186:                              ;   in Loop: Header=BB2_131 Depth=3
	v_bfe_u32 v98, v85, 16, 2
	v_bfe_u32 v76, v85, 18, 5
	v_lshlrev_b32_e32 v77, 8, v85
	v_ffbh_u32_e32 v99, v98
	v_cmp_eq_u32_e32 vcc_lo, 0, v76
	v_min_u32_e32 v99, 32, v99
	v_subrev_nc_u32_e32 v75, 29, v99
	v_sub_nc_u32_e32 v99, 30, v99
	v_lshlrev_b32_sdwa v75, v75, v85 dst_sel:DWORD dst_unused:UNUSED_PAD src0_sel:DWORD src1_sel:WORD_1
	v_cndmask_b32_e32 v99, v76, v99, vcc_lo
	v_and_b32_e32 v75, 3, v75
	v_lshl_add_u32 v99, v99, 23, 0x37800000
	v_cndmask_b32_e32 v98, v98, v75, vcc_lo
	v_and_b32_e32 v75, 0x80000000, v77
	v_lshlrev_b32_e32 v98, 21, v98
	v_or3_b32 v98, v75, v99, v98
.LBB2_187:                              ;   in Loop: Header=BB2_131 Depth=3
	s_or_b32 exec_lo, exec_lo, s24
	v_mul_f32_e32 v98, v23, v98
	v_and_b32_e32 v23, 0x7f800000, v98
	v_cmp_ne_u32_e32 vcc_lo, 0x7f800000, v23
	v_mov_b32_e32 v23, 0x80
	s_and_saveexec_b32 s24, vcc_lo
	s_cbranch_execz .LBB2_195
; %bb.188:                              ;   in Loop: Header=BB2_131 Depth=3
	v_mov_b32_e32 v23, 0
	s_mov_b32 s25, exec_lo
	v_cmpx_ne_u32_e32 0, v98
	s_cbranch_execz .LBB2_194
; %bb.189:                              ;   in Loop: Header=BB2_131 Depth=3
	v_bfe_u32 v23, v98, 23, 8
	v_and_b32_e32 v99, 0x7fffff, v98
	v_sub_nc_u32_e32 v75, 0x70, v23
	v_cmp_gt_u32_e32 vcc_lo, 0x71, v23
	v_or_b32_e32 v76, 0x800000, v99
	v_cndmask_b32_e32 v75, 0, v75, vcc_lo
	v_cmp_eq_u32_e32 vcc_lo, 0, v23
	v_add_nc_u32_e32 v23, 0xffffff91, v23
	v_cndmask_b32_e64 v75, v75, 0x6f, vcc_lo
	v_cndmask_b32_e32 v99, v76, v99, vcc_lo
	v_cndmask_b32_e64 v23, v23, 0xffffff92, vcc_lo
	v_lshl_add_u32 v76, 0x200000, v75, -1
	v_lshrrev_b32_e32 v77, v75, v99
	v_lshlrev_b32_e64 v79, v75, 0x100000
	v_add_nc_u32_e32 v75, v75, v23
	v_and_b32_e32 v99, v76, v99
	v_bfe_u32 v78, v77, 21, 1
	v_cmp_eq_u32_e64 s11, v99, v79
	v_add_nc_u32_e32 v76, -1, v78
	v_cndmask_b32_e64 v99, 0, v76, s11
	v_lshrrev_b32_e32 v76, 23, v77
	s_mov_b32 s11, exec_lo
	v_add_nc_u32_e32 v99, v99, v77
	v_xor_b32_e32 v76, 1, v76
	v_and_b32_e32 v23, 0x1fffff, v99
	v_add_nc_u32_e32 v99, v23, v77
                                        ; implicit-def: $vgpr23
	v_cmpx_ne_u32_e64 v75, v76
	s_xor_b32 s11, exec_lo, s11
; %bb.190:                              ;   in Loop: Header=BB2_131 Depth=3
	v_cmp_lt_u32_e32 vcc_lo, 0xffffff, v99
	v_sub_nc_u32_e32 v23, v75, v76
	v_cndmask_b32_e64 v75, 0, 1, vcc_lo
	v_add_co_ci_u32_e64 v23, null, 0, v23, vcc_lo
	v_lshrrev_b32_e32 v99, v75, v99
; %bb.191:                              ;   in Loop: Header=BB2_131 Depth=3
	s_andn2_saveexec_b32 s11, s11
; %bb.192:                              ;   in Loop: Header=BB2_131 Depth=3
	v_bfe_u32 v23, v99, 23, 1
; %bb.193:                              ;   in Loop: Header=BB2_131 Depth=3
	s_or_b32 exec_lo, exec_lo, s11
	v_lshrrev_b32_e32 v99, 21, v99
	v_min_i32_e32 v75, 31, v23
	v_cmp_gt_i32_e32 vcc_lo, 32, v23
	v_and_b32_sdwa v98, v98, v41 dst_sel:DWORD dst_unused:UNUSED_PAD src0_sel:BYTE_3 src1_sel:DWORD
	v_lshlrev_b32_e32 v75, 2, v75
	v_cndmask_b32_e32 v99, 3, v99, vcc_lo
	v_and_b32_e32 v75, 0xfc, v75
	v_and_b32_e32 v76, 3, v99
	v_or_b32_e32 v23, v23, v99
	v_or3_b32 v98, v75, v98, v76
	v_cmp_ne_u32_e32 vcc_lo, 0, v23
	v_cndmask_b32_e32 v23, 0, v98, vcc_lo
.LBB2_194:                              ;   in Loop: Header=BB2_131 Depth=3
	s_or_b32 exec_lo, exec_lo, s25
.LBB2_195:                              ;   in Loop: Header=BB2_131 Depth=3
	s_or_b32 exec_lo, exec_lo, s24
	v_cmp_gt_i16_sdwa s24, v20, v40 src0_sel:BYTE_3 src1_sel:DWORD
	s_mov_b32 s11, 0
	s_and_saveexec_b32 s25, s24
	s_xor_b32 s24, exec_lo, s25
	s_cbranch_execnz .LBB2_297
; %bb.196:                              ;   in Loop: Header=BB2_131 Depth=3
	s_or_saveexec_b32 s24, s24
	v_mov_b32_e32 v98, 0x7f800001
	s_xor_b32 exec_lo, exec_lo, s24
	s_cbranch_execnz .LBB2_300
.LBB2_197:                              ;   in Loop: Header=BB2_131 Depth=3
	s_or_b32 exec_lo, exec_lo, s24
	s_and_saveexec_b32 s24, s11
	s_cbranch_execz .LBB2_199
.LBB2_198:                              ;   in Loop: Header=BB2_131 Depth=3
	v_bfe_u32 v98, v20, 24, 2
	v_bfe_u32 v76, v20, 26, 5
	v_ffbh_u32_e32 v99, v98
	v_cmp_eq_u32_e32 vcc_lo, 0, v76
	v_min_u32_e32 v99, 32, v99
	v_subrev_nc_u32_e32 v75, 29, v99
	v_sub_nc_u32_e32 v99, 30, v99
	v_lshlrev_b32_sdwa v75, v75, v20 dst_sel:DWORD dst_unused:UNUSED_PAD src0_sel:DWORD src1_sel:BYTE_3
	v_cndmask_b32_e32 v99, v76, v99, vcc_lo
	v_and_b32_e32 v20, 0x80000000, v20
	v_and_b32_e32 v75, 3, v75
	v_lshl_add_u32 v99, v99, 23, 0x37800000
	v_cndmask_b32_e32 v98, v98, v75, vcc_lo
	v_lshlrev_b32_e32 v98, 21, v98
	v_or3_b32 v98, v20, v99, v98
.LBB2_199:                              ;   in Loop: Header=BB2_131 Depth=3
	s_or_b32 exec_lo, exec_lo, s24
	v_cmp_gt_i16_sdwa s24, v85, v40 src0_sel:BYTE_3 src1_sel:DWORD
	s_mov_b32 s11, 0
	s_and_saveexec_b32 s25, s24
	s_xor_b32 s24, exec_lo, s25
	s_cbranch_execnz .LBB2_301
; %bb.200:                              ;   in Loop: Header=BB2_131 Depth=3
	s_or_saveexec_b32 s24, s24
	v_mov_b32_e32 v20, 0x7f800001
	s_xor_b32 exec_lo, exec_lo, s24
	s_cbranch_execnz .LBB2_304
.LBB2_201:                              ;   in Loop: Header=BB2_131 Depth=3
	s_or_b32 exec_lo, exec_lo, s24
	s_and_saveexec_b32 s24, s11
	s_cbranch_execz .LBB2_203
.LBB2_202:                              ;   in Loop: Header=BB2_131 Depth=3
	v_bfe_u32 v20, v85, 24, 2
	v_bfe_u32 v76, v85, 26, 5
	v_ffbh_u32_e32 v99, v20
	v_cmp_eq_u32_e32 vcc_lo, 0, v76
	v_min_u32_e32 v99, 32, v99
	v_subrev_nc_u32_e32 v75, 29, v99
	v_sub_nc_u32_e32 v99, 30, v99
	v_lshlrev_b32_sdwa v75, v75, v85 dst_sel:DWORD dst_unused:UNUSED_PAD src0_sel:DWORD src1_sel:BYTE_3
	v_cndmask_b32_e32 v99, v76, v99, vcc_lo
	v_and_b32_e32 v85, 0x80000000, v85
	v_and_b32_e32 v75, 3, v75
	v_lshl_add_u32 v99, v99, 23, 0x37800000
	v_cndmask_b32_e32 v20, v20, v75, vcc_lo
	v_lshlrev_b32_e32 v20, 21, v20
	v_or3_b32 v20, v85, v99, v20
.LBB2_203:                              ;   in Loop: Header=BB2_131 Depth=3
	s_or_b32 exec_lo, exec_lo, s24
	v_mul_f32_e32 v85, v98, v20
	v_and_b32_e32 v20, 0x7f800000, v85
	v_cmp_ne_u32_e32 vcc_lo, 0x7f800000, v20
	v_mov_b32_e32 v20, 0x8000
	s_and_saveexec_b32 s24, vcc_lo
	s_cbranch_execz .LBB2_211
; %bb.204:                              ;   in Loop: Header=BB2_131 Depth=3
	v_mov_b32_e32 v20, 0
	s_mov_b32 s25, exec_lo
	v_cmpx_ne_u32_e32 0, v85
	s_cbranch_execz .LBB2_210
; %bb.205:                              ;   in Loop: Header=BB2_131 Depth=3
	v_bfe_u32 v20, v85, 23, 8
	v_and_b32_e32 v98, 0x7fffff, v85
	v_sub_nc_u32_e32 v99, 0x70, v20
	v_cmp_gt_u32_e32 vcc_lo, 0x71, v20
	v_or_b32_e32 v75, 0x800000, v98
	v_cndmask_b32_e32 v99, 0, v99, vcc_lo
	v_cmp_eq_u32_e32 vcc_lo, 0, v20
	v_add_nc_u32_e32 v20, 0xffffff91, v20
	v_cndmask_b32_e64 v99, v99, 0x6f, vcc_lo
	v_cndmask_b32_e32 v98, v75, v98, vcc_lo
	v_cndmask_b32_e64 v20, v20, 0xffffff92, vcc_lo
	v_lshl_add_u32 v75, 0x200000, v99, -1
	v_lshrrev_b32_e32 v76, v99, v98
	v_lshlrev_b32_e64 v78, v99, 0x100000
	v_add_nc_u32_e32 v99, v99, v20
	v_and_b32_e32 v98, v75, v98
	v_bfe_u32 v77, v76, 21, 1
	v_cmp_eq_u32_e64 s11, v98, v78
	v_add_nc_u32_e32 v75, -1, v77
	v_cndmask_b32_e64 v98, 0, v75, s11
	v_lshrrev_b32_e32 v75, 23, v76
	s_mov_b32 s11, exec_lo
	v_add_nc_u32_e32 v98, v98, v76
	v_xor_b32_e32 v75, 1, v75
	v_and_b32_e32 v20, 0x1fffff, v98
	v_add_nc_u32_e32 v98, v20, v76
                                        ; implicit-def: $vgpr20
	v_cmpx_ne_u32_e64 v99, v75
	s_xor_b32 s11, exec_lo, s11
; %bb.206:                              ;   in Loop: Header=BB2_131 Depth=3
	v_cmp_lt_u32_e32 vcc_lo, 0xffffff, v98
	v_sub_nc_u32_e32 v20, v99, v75
	v_cndmask_b32_e64 v99, 0, 1, vcc_lo
	v_add_co_ci_u32_e64 v20, null, 0, v20, vcc_lo
	v_lshrrev_b32_e32 v98, v99, v98
; %bb.207:                              ;   in Loop: Header=BB2_131 Depth=3
	s_andn2_saveexec_b32 s11, s11
; %bb.208:                              ;   in Loop: Header=BB2_131 Depth=3
	v_bfe_u32 v20, v98, 23, 1
; %bb.209:                              ;   in Loop: Header=BB2_131 Depth=3
	s_or_b32 exec_lo, exec_lo, s11
	v_lshrrev_b32_e32 v98, 21, v98
	v_min_i32_e32 v99, 31, v20
	v_cmp_gt_i32_e32 vcc_lo, 32, v20
	v_and_b32_sdwa v85, v85, v41 dst_sel:DWORD dst_unused:UNUSED_PAD src0_sel:BYTE_3 src1_sel:DWORD
	v_lshlrev_b32_e32 v99, 2, v99
	v_cndmask_b32_e32 v98, 3, v98, vcc_lo
	v_and_b32_e32 v99, 0xfc, v99
	v_and_b32_e32 v75, 3, v98
	v_or_b32_e32 v20, v20, v98
	v_or3_b32 v85, v85, v99, v75
	v_cmp_ne_u32_e32 vcc_lo, 0, v20
	v_lshlrev_b32_e32 v85, 8, v85
	v_cndmask_b32_e32 v20, 0, v85, vcc_lo
.LBB2_210:                              ;   in Loop: Header=BB2_131 Depth=3
	s_or_b32 exec_lo, exec_lo, s25
.LBB2_211:                              ;   in Loop: Header=BB2_131 Depth=3
	s_or_b32 exec_lo, exec_lo, s24
	v_cmp_gt_i16_sdwa s24, v22, v40 src0_sel:BYTE_0 src1_sel:DWORD
	s_mov_b32 s11, 0
	s_and_saveexec_b32 s25, s24
	s_xor_b32 s24, exec_lo, s25
	s_cbranch_execnz .LBB2_305
; %bb.212:                              ;   in Loop: Header=BB2_131 Depth=3
	s_or_saveexec_b32 s24, s24
	v_mov_b32_e32 v85, 0x7f800001
	s_xor_b32 exec_lo, exec_lo, s24
	s_cbranch_execnz .LBB2_308
.LBB2_213:                              ;   in Loop: Header=BB2_131 Depth=3
	s_or_b32 exec_lo, exec_lo, s24
	s_and_saveexec_b32 s24, s11
	s_cbranch_execz .LBB2_215
.LBB2_214:                              ;   in Loop: Header=BB2_131 Depth=3
	v_and_b32_e32 v85, 3, v22
	v_bfe_u32 v75, v22, 2, 5
	v_lshlrev_b32_e32 v76, 24, v22
	v_ffbh_u32_e32 v98, v85
	v_cmp_eq_u32_e32 vcc_lo, 0, v75
	v_min_u32_e32 v98, 32, v98
	v_subrev_nc_u32_e32 v99, 29, v98
	v_sub_nc_u32_e32 v98, 30, v98
	v_lshlrev_b32_e32 v99, v99, v22
	v_cndmask_b32_e32 v98, v75, v98, vcc_lo
	v_and_b32_e32 v99, 3, v99
	v_lshl_add_u32 v98, v98, 23, 0x37800000
	v_cndmask_b32_e32 v85, v85, v99, vcc_lo
	v_and_b32_e32 v99, 0x80000000, v76
	v_lshlrev_b32_e32 v85, 21, v85
	v_or3_b32 v85, v99, v98, v85
.LBB2_215:                              ;   in Loop: Header=BB2_131 Depth=3
	s_or_b32 exec_lo, exec_lo, s24
	v_alignbit_b32 v54, v73, v74, v54
	s_mov_b32 s11, 0
	v_cmp_gt_i16_sdwa s24, v54, v40 src0_sel:BYTE_0 src1_sel:DWORD
	s_and_saveexec_b32 s25, s24
	s_xor_b32 s24, exec_lo, s25
	s_cbranch_execnz .LBB2_309
; %bb.216:                              ;   in Loop: Header=BB2_131 Depth=3
	s_or_saveexec_b32 s24, s24
	v_mov_b32_e32 v98, 0x7f800001
	s_xor_b32 exec_lo, exec_lo, s24
	s_cbranch_execnz .LBB2_312
.LBB2_217:                              ;   in Loop: Header=BB2_131 Depth=3
	s_or_b32 exec_lo, exec_lo, s24
	s_and_saveexec_b32 s24, s11
	s_cbranch_execz .LBB2_219
.LBB2_218:                              ;   in Loop: Header=BB2_131 Depth=3
	v_and_b32_e32 v98, 3, v54
	v_bfe_u32 v74, v54, 2, 5
	v_lshlrev_b32_e32 v75, 24, v54
	v_ffbh_u32_e32 v99, v98
	v_cmp_eq_u32_e32 vcc_lo, 0, v74
	v_min_u32_e32 v99, 32, v99
	v_subrev_nc_u32_e32 v73, 29, v99
	v_sub_nc_u32_e32 v99, 30, v99
	v_lshlrev_b32_e32 v73, v73, v54
	v_cndmask_b32_e32 v99, v74, v99, vcc_lo
	v_and_b32_e32 v73, 3, v73
	v_lshl_add_u32 v99, v99, 23, 0x37800000
	v_cndmask_b32_e32 v98, v98, v73, vcc_lo
	v_and_b32_e32 v73, 0x80000000, v75
	v_lshlrev_b32_e32 v98, 21, v98
	v_or3_b32 v98, v73, v99, v98
.LBB2_219:                              ;   in Loop: Header=BB2_131 Depth=3
	s_or_b32 exec_lo, exec_lo, s24
	v_mul_f32_e32 v98, v85, v98
	v_and_b32_e32 v85, 0x7f800000, v98
	v_cmp_ne_u32_e32 vcc_lo, 0x7f800000, v85
	v_mov_b32_e32 v85, 0x80
	s_and_saveexec_b32 s24, vcc_lo
	s_cbranch_execz .LBB2_227
; %bb.220:                              ;   in Loop: Header=BB2_131 Depth=3
	v_mov_b32_e32 v85, 0
	s_mov_b32 s25, exec_lo
	v_cmpx_ne_u32_e32 0, v98
	s_cbranch_execz .LBB2_226
; %bb.221:                              ;   in Loop: Header=BB2_131 Depth=3
	v_bfe_u32 v85, v98, 23, 8
	v_and_b32_e32 v99, 0x7fffff, v98
	v_sub_nc_u32_e32 v73, 0x70, v85
	v_cmp_gt_u32_e32 vcc_lo, 0x71, v85
	v_or_b32_e32 v74, 0x800000, v99
	v_cndmask_b32_e32 v73, 0, v73, vcc_lo
	v_cmp_eq_u32_e32 vcc_lo, 0, v85
	v_add_nc_u32_e32 v85, 0xffffff91, v85
	v_cndmask_b32_e64 v73, v73, 0x6f, vcc_lo
	v_cndmask_b32_e32 v99, v74, v99, vcc_lo
	v_cndmask_b32_e64 v85, v85, 0xffffff92, vcc_lo
	v_lshl_add_u32 v74, 0x200000, v73, -1
	v_lshrrev_b32_e32 v75, v73, v99
	v_lshlrev_b32_e64 v77, v73, 0x100000
	v_add_nc_u32_e32 v73, v73, v85
	v_and_b32_e32 v99, v74, v99
	v_bfe_u32 v76, v75, 21, 1
	v_cmp_eq_u32_e64 s11, v99, v77
	v_add_nc_u32_e32 v74, -1, v76
	v_cndmask_b32_e64 v99, 0, v74, s11
	v_lshrrev_b32_e32 v74, 23, v75
	s_mov_b32 s11, exec_lo
	v_add_nc_u32_e32 v99, v99, v75
	v_xor_b32_e32 v74, 1, v74
	v_and_b32_e32 v85, 0x1fffff, v99
	v_add_nc_u32_e32 v99, v85, v75
                                        ; implicit-def: $vgpr85
	v_cmpx_ne_u32_e64 v73, v74
	s_xor_b32 s11, exec_lo, s11
; %bb.222:                              ;   in Loop: Header=BB2_131 Depth=3
	v_cmp_lt_u32_e32 vcc_lo, 0xffffff, v99
	v_sub_nc_u32_e32 v85, v73, v74
	v_cndmask_b32_e64 v73, 0, 1, vcc_lo
	v_add_co_ci_u32_e64 v85, null, 0, v85, vcc_lo
	v_lshrrev_b32_e32 v99, v73, v99
; %bb.223:                              ;   in Loop: Header=BB2_131 Depth=3
	s_andn2_saveexec_b32 s11, s11
; %bb.224:                              ;   in Loop: Header=BB2_131 Depth=3
	v_bfe_u32 v85, v99, 23, 1
; %bb.225:                              ;   in Loop: Header=BB2_131 Depth=3
	s_or_b32 exec_lo, exec_lo, s11
	v_lshrrev_b32_e32 v99, 21, v99
	v_min_i32_e32 v73, 31, v85
	v_cmp_gt_i32_e32 vcc_lo, 32, v85
	v_and_b32_sdwa v98, v98, v41 dst_sel:DWORD dst_unused:UNUSED_PAD src0_sel:BYTE_3 src1_sel:DWORD
	v_lshlrev_b32_e32 v73, 2, v73
	v_cndmask_b32_e32 v99, 3, v99, vcc_lo
	v_and_b32_e32 v73, 0xfc, v73
	v_and_b32_e32 v74, 3, v99
	v_or_b32_e32 v85, v85, v99
	v_or3_b32 v98, v73, v98, v74
	v_cmp_ne_u32_e32 vcc_lo, 0, v85
	v_cndmask_b32_e32 v85, 0, v98, vcc_lo
.LBB2_226:                              ;   in Loop: Header=BB2_131 Depth=3
	s_or_b32 exec_lo, exec_lo, s25
.LBB2_227:                              ;   in Loop: Header=BB2_131 Depth=3
	s_or_b32 exec_lo, exec_lo, s24
	v_cmp_gt_i16_sdwa s24, v22, v40 src0_sel:BYTE_1 src1_sel:DWORD
	s_mov_b32 s11, 0
	s_and_saveexec_b32 s25, s24
	s_xor_b32 s24, exec_lo, s25
	s_cbranch_execnz .LBB2_313
; %bb.228:                              ;   in Loop: Header=BB2_131 Depth=3
	s_or_saveexec_b32 s24, s24
	v_mov_b32_e32 v98, 0x7f800001
	s_xor_b32 exec_lo, exec_lo, s24
	s_cbranch_execnz .LBB2_316
.LBB2_229:                              ;   in Loop: Header=BB2_131 Depth=3
	s_or_b32 exec_lo, exec_lo, s24
	s_and_saveexec_b32 s24, s11
	s_cbranch_execz .LBB2_231
.LBB2_230:                              ;   in Loop: Header=BB2_131 Depth=3
	v_and_b32_sdwa v98, v42, v22 dst_sel:DWORD dst_unused:UNUSED_PAD src0_sel:DWORD src1_sel:BYTE_1
	v_and_b32_e32 v99, 3, v98
	v_bfe_u32 v75, v98, 2, 5
	v_ffbh_u32_e32 v73, v99
	v_cmp_eq_u32_e32 vcc_lo, 0, v75
	v_min_u32_e32 v73, 32, v73
	v_subrev_nc_u32_e32 v74, 29, v73
	v_sub_nc_u32_e32 v73, 30, v73
	v_lshlrev_b32_e32 v98, v74, v98
	v_lshlrev_b32_sdwa v74, v43, v22 dst_sel:DWORD dst_unused:UNUSED_PAD src0_sel:DWORD src1_sel:BYTE_1
	v_cndmask_b32_e32 v73, v75, v73, vcc_lo
	v_and_b32_e32 v98, 3, v98
	v_lshl_add_u32 v73, v73, 23, 0x37800000
	v_cndmask_b32_e32 v98, v99, v98, vcc_lo
	v_and_b32_e32 v99, 0x80000000, v74
	v_lshlrev_b32_e32 v98, 21, v98
	v_or3_b32 v98, v99, v73, v98
.LBB2_231:                              ;   in Loop: Header=BB2_131 Depth=3
	s_or_b32 exec_lo, exec_lo, s24
	v_cmp_gt_i16_sdwa s24, v54, v40 src0_sel:BYTE_1 src1_sel:DWORD
	s_mov_b32 s11, 0
	s_and_saveexec_b32 s25, s24
	s_xor_b32 s24, exec_lo, s25
	s_cbranch_execnz .LBB2_317
; %bb.232:                              ;   in Loop: Header=BB2_131 Depth=3
	s_or_saveexec_b32 s24, s24
	v_mov_b32_e32 v99, 0x7f800001
	s_xor_b32 exec_lo, exec_lo, s24
	s_cbranch_execnz .LBB2_320
.LBB2_233:                              ;   in Loop: Header=BB2_131 Depth=3
	s_or_b32 exec_lo, exec_lo, s24
	s_and_saveexec_b32 s24, s11
	s_cbranch_execz .LBB2_235
.LBB2_234:                              ;   in Loop: Header=BB2_131 Depth=3
	v_and_b32_sdwa v99, v42, v54 dst_sel:DWORD dst_unused:UNUSED_PAD src0_sel:DWORD src1_sel:BYTE_1
	v_and_b32_e32 v73, 3, v99
	v_bfe_u32 v76, v99, 2, 5
	v_ffbh_u32_e32 v74, v73
	v_cmp_eq_u32_e32 vcc_lo, 0, v76
	v_min_u32_e32 v74, 32, v74
	v_subrev_nc_u32_e32 v75, 29, v74
	v_sub_nc_u32_e32 v74, 30, v74
	v_lshlrev_b32_e32 v99, v75, v99
	v_lshlrev_b32_sdwa v75, v43, v54 dst_sel:DWORD dst_unused:UNUSED_PAD src0_sel:DWORD src1_sel:BYTE_1
	v_cndmask_b32_e32 v74, v76, v74, vcc_lo
	v_and_b32_e32 v99, 3, v99
	v_lshl_add_u32 v74, v74, 23, 0x37800000
	v_cndmask_b32_e32 v99, v73, v99, vcc_lo
	v_and_b32_e32 v73, 0x80000000, v75
	v_lshlrev_b32_e32 v99, 21, v99
	v_or3_b32 v99, v73, v74, v99
.LBB2_235:                              ;   in Loop: Header=BB2_131 Depth=3
	s_or_b32 exec_lo, exec_lo, s24
	v_mul_f32_e32 v99, v98, v99
	v_and_b32_e32 v98, 0x7f800000, v99
	v_cmp_ne_u32_e32 vcc_lo, 0x7f800000, v98
	v_mov_b32_e32 v98, 0x8000
	s_and_saveexec_b32 s24, vcc_lo
	s_cbranch_execz .LBB2_243
; %bb.236:                              ;   in Loop: Header=BB2_131 Depth=3
	v_mov_b32_e32 v98, 0
	s_mov_b32 s25, exec_lo
	v_cmpx_ne_u32_e32 0, v99
	s_cbranch_execz .LBB2_242
; %bb.237:                              ;   in Loop: Header=BB2_131 Depth=3
	v_bfe_u32 v98, v99, 23, 8
	v_and_b32_e32 v73, 0x7fffff, v99
	v_sub_nc_u32_e32 v74, 0x70, v98
	v_cmp_gt_u32_e32 vcc_lo, 0x71, v98
	v_or_b32_e32 v75, 0x800000, v73
	v_cndmask_b32_e32 v74, 0, v74, vcc_lo
	v_cmp_eq_u32_e32 vcc_lo, 0, v98
	v_add_nc_u32_e32 v98, 0xffffff91, v98
	v_cndmask_b32_e64 v74, v74, 0x6f, vcc_lo
	v_cndmask_b32_e32 v73, v75, v73, vcc_lo
	v_cndmask_b32_e64 v98, v98, 0xffffff92, vcc_lo
	v_lshl_add_u32 v75, 0x200000, v74, -1
	v_lshrrev_b32_e32 v76, v74, v73
	v_lshlrev_b32_e64 v78, v74, 0x100000
	v_add_nc_u32_e32 v74, v74, v98
	v_and_b32_e32 v73, v75, v73
	v_bfe_u32 v77, v76, 21, 1
	v_cmp_eq_u32_e64 s11, v73, v78
	v_add_nc_u32_e32 v75, -1, v77
	v_cndmask_b32_e64 v73, 0, v75, s11
	v_lshrrev_b32_e32 v75, 23, v76
	s_mov_b32 s11, exec_lo
	v_add_nc_u32_e32 v73, v73, v76
	v_xor_b32_e32 v75, 1, v75
	v_and_b32_e32 v98, 0x1fffff, v73
	v_add_nc_u32_e32 v73, v98, v76
                                        ; implicit-def: $vgpr98
	v_cmpx_ne_u32_e64 v74, v75
	s_xor_b32 s11, exec_lo, s11
; %bb.238:                              ;   in Loop: Header=BB2_131 Depth=3
	v_cmp_lt_u32_e32 vcc_lo, 0xffffff, v73
	v_sub_nc_u32_e32 v98, v74, v75
	v_cndmask_b32_e64 v74, 0, 1, vcc_lo
	v_add_co_ci_u32_e64 v98, null, 0, v98, vcc_lo
	v_lshrrev_b32_e32 v73, v74, v73
; %bb.239:                              ;   in Loop: Header=BB2_131 Depth=3
	s_andn2_saveexec_b32 s11, s11
; %bb.240:                              ;   in Loop: Header=BB2_131 Depth=3
	v_bfe_u32 v98, v73, 23, 1
; %bb.241:                              ;   in Loop: Header=BB2_131 Depth=3
	s_or_b32 exec_lo, exec_lo, s11
	v_lshrrev_b32_e32 v73, 21, v73
	v_min_i32_e32 v74, 31, v98
	v_cmp_gt_i32_e32 vcc_lo, 32, v98
	v_and_b32_sdwa v99, v99, v41 dst_sel:DWORD dst_unused:UNUSED_PAD src0_sel:BYTE_3 src1_sel:DWORD
	v_lshlrev_b32_e32 v74, 2, v74
	v_cndmask_b32_e32 v73, 3, v73, vcc_lo
	v_and_b32_e32 v74, 0xfc, v74
	v_and_b32_e32 v75, 3, v73
	v_or_b32_e32 v98, v98, v73
	v_or3_b32 v99, v99, v74, v75
	v_cmp_ne_u32_e32 vcc_lo, 0, v98
	v_lshlrev_b32_e32 v99, 8, v99
	v_cndmask_b32_e32 v98, 0, v99, vcc_lo
.LBB2_242:                              ;   in Loop: Header=BB2_131 Depth=3
	s_or_b32 exec_lo, exec_lo, s25
.LBB2_243:                              ;   in Loop: Header=BB2_131 Depth=3
	s_or_b32 exec_lo, exec_lo, s24
	v_and_b32_sdwa v73, v22, v44 dst_sel:DWORD dst_unused:UNUSED_PAD src0_sel:WORD_1 src1_sel:DWORD
	s_mov_b32 s11, 0
	s_mov_b32 s24, exec_lo
	v_cmpx_lt_i16_e32 0x7f, v73
	s_xor_b32 s24, exec_lo, s24
	s_cbranch_execnz .LBB2_321
; %bb.244:                              ;   in Loop: Header=BB2_131 Depth=3
	s_or_saveexec_b32 s24, s24
	v_mov_b32_e32 v99, 0x7f800001
	s_xor_b32 exec_lo, exec_lo, s24
	s_cbranch_execnz .LBB2_324
.LBB2_245:                              ;   in Loop: Header=BB2_131 Depth=3
	s_or_b32 exec_lo, exec_lo, s24
	s_and_saveexec_b32 s24, s11
	s_cbranch_execz .LBB2_247
.LBB2_246:                              ;   in Loop: Header=BB2_131 Depth=3
	v_bfe_u32 v99, v22, 16, 2
	v_bfe_u32 v75, v22, 18, 5
	v_lshlrev_b32_e32 v76, 8, v22
	v_ffbh_u32_e32 v73, v99
	v_cmp_eq_u32_e32 vcc_lo, 0, v75
	v_min_u32_e32 v73, 32, v73
	v_subrev_nc_u32_e32 v74, 29, v73
	v_sub_nc_u32_e32 v73, 30, v73
	v_lshlrev_b32_sdwa v74, v74, v22 dst_sel:DWORD dst_unused:UNUSED_PAD src0_sel:DWORD src1_sel:WORD_1
	v_cndmask_b32_e32 v73, v75, v73, vcc_lo
	v_and_b32_e32 v74, 3, v74
	v_lshl_add_u32 v73, v73, 23, 0x37800000
	v_cndmask_b32_e32 v99, v99, v74, vcc_lo
	v_and_b32_e32 v74, 0x80000000, v76
	v_lshlrev_b32_e32 v99, 21, v99
	v_or3_b32 v99, v74, v73, v99
.LBB2_247:                              ;   in Loop: Header=BB2_131 Depth=3
	s_or_b32 exec_lo, exec_lo, s24
	v_and_b32_sdwa v74, v54, v44 dst_sel:DWORD dst_unused:UNUSED_PAD src0_sel:WORD_1 src1_sel:DWORD
	s_mov_b32 s11, 0
	s_mov_b32 s24, exec_lo
	v_cmpx_lt_i16_e32 0x7f, v74
	s_xor_b32 s24, exec_lo, s24
	s_cbranch_execnz .LBB2_325
; %bb.248:                              ;   in Loop: Header=BB2_131 Depth=3
	s_or_saveexec_b32 s24, s24
	v_mov_b32_e32 v73, 0x7f800001
	s_xor_b32 exec_lo, exec_lo, s24
	s_cbranch_execnz .LBB2_328
.LBB2_249:                              ;   in Loop: Header=BB2_131 Depth=3
	s_or_b32 exec_lo, exec_lo, s24
	s_and_saveexec_b32 s24, s11
	s_cbranch_execz .LBB2_251
.LBB2_250:                              ;   in Loop: Header=BB2_131 Depth=3
	v_bfe_u32 v73, v54, 16, 2
	v_bfe_u32 v76, v54, 18, 5
	v_lshlrev_b32_e32 v77, 8, v54
	v_ffbh_u32_e32 v74, v73
	v_cmp_eq_u32_e32 vcc_lo, 0, v76
	v_min_u32_e32 v74, 32, v74
	v_subrev_nc_u32_e32 v75, 29, v74
	v_sub_nc_u32_e32 v74, 30, v74
	v_lshlrev_b32_sdwa v75, v75, v54 dst_sel:DWORD dst_unused:UNUSED_PAD src0_sel:DWORD src1_sel:WORD_1
	v_cndmask_b32_e32 v74, v76, v74, vcc_lo
	v_and_b32_e32 v75, 3, v75
	v_lshl_add_u32 v74, v74, 23, 0x37800000
	v_cndmask_b32_e32 v73, v73, v75, vcc_lo
	v_and_b32_e32 v75, 0x80000000, v77
	v_lshlrev_b32_e32 v73, 21, v73
	v_or3_b32 v73, v75, v74, v73
.LBB2_251:                              ;   in Loop: Header=BB2_131 Depth=3
	s_or_b32 exec_lo, exec_lo, s24
	v_mul_f32_e32 v73, v99, v73
	v_and_b32_e32 v99, 0x7f800000, v73
	v_cmp_ne_u32_e32 vcc_lo, 0x7f800000, v99
	v_mov_b32_e32 v99, 0x80
	s_and_saveexec_b32 s24, vcc_lo
	s_cbranch_execz .LBB2_259
; %bb.252:                              ;   in Loop: Header=BB2_131 Depth=3
	v_mov_b32_e32 v99, 0
	s_mov_b32 s25, exec_lo
	v_cmpx_ne_u32_e32 0, v73
	s_cbranch_execz .LBB2_258
; %bb.253:                              ;   in Loop: Header=BB2_131 Depth=3
	v_bfe_u32 v99, v73, 23, 8
	v_and_b32_e32 v74, 0x7fffff, v73
	v_sub_nc_u32_e32 v75, 0x70, v99
	v_cmp_gt_u32_e32 vcc_lo, 0x71, v99
	v_or_b32_e32 v76, 0x800000, v74
	v_cndmask_b32_e32 v75, 0, v75, vcc_lo
	v_cmp_eq_u32_e32 vcc_lo, 0, v99
	v_add_nc_u32_e32 v99, 0xffffff91, v99
	v_cndmask_b32_e64 v75, v75, 0x6f, vcc_lo
	v_cndmask_b32_e32 v74, v76, v74, vcc_lo
	v_cndmask_b32_e64 v99, v99, 0xffffff92, vcc_lo
	v_lshl_add_u32 v76, 0x200000, v75, -1
	v_lshrrev_b32_e32 v77, v75, v74
	v_lshlrev_b32_e64 v79, v75, 0x100000
	v_add_nc_u32_e32 v75, v75, v99
	v_and_b32_e32 v74, v76, v74
	v_bfe_u32 v78, v77, 21, 1
	v_cmp_eq_u32_e64 s11, v74, v79
	v_add_nc_u32_e32 v76, -1, v78
	v_cndmask_b32_e64 v74, 0, v76, s11
	v_lshrrev_b32_e32 v76, 23, v77
	s_mov_b32 s11, exec_lo
	v_add_nc_u32_e32 v74, v74, v77
	v_xor_b32_e32 v76, 1, v76
	v_and_b32_e32 v99, 0x1fffff, v74
	v_add_nc_u32_e32 v74, v99, v77
                                        ; implicit-def: $vgpr99
	v_cmpx_ne_u32_e64 v75, v76
	s_xor_b32 s11, exec_lo, s11
; %bb.254:                              ;   in Loop: Header=BB2_131 Depth=3
	v_cmp_lt_u32_e32 vcc_lo, 0xffffff, v74
	v_sub_nc_u32_e32 v99, v75, v76
	v_cndmask_b32_e64 v75, 0, 1, vcc_lo
	v_add_co_ci_u32_e64 v99, null, 0, v99, vcc_lo
	v_lshrrev_b32_e32 v74, v75, v74
; %bb.255:                              ;   in Loop: Header=BB2_131 Depth=3
	s_andn2_saveexec_b32 s11, s11
; %bb.256:                              ;   in Loop: Header=BB2_131 Depth=3
	v_bfe_u32 v99, v74, 23, 1
; %bb.257:                              ;   in Loop: Header=BB2_131 Depth=3
	s_or_b32 exec_lo, exec_lo, s11
	v_lshrrev_b32_e32 v74, 21, v74
	v_min_i32_e32 v75, 31, v99
	v_cmp_gt_i32_e32 vcc_lo, 32, v99
	v_and_b32_sdwa v73, v73, v41 dst_sel:DWORD dst_unused:UNUSED_PAD src0_sel:BYTE_3 src1_sel:DWORD
	v_lshlrev_b32_e32 v75, 2, v75
	v_cndmask_b32_e32 v74, 3, v74, vcc_lo
	v_and_b32_e32 v75, 0xfc, v75
	v_and_b32_e32 v76, 3, v74
	v_or_b32_e32 v99, v99, v74
	v_or3_b32 v73, v75, v73, v76
	v_cmp_ne_u32_e32 vcc_lo, 0, v99
	v_cndmask_b32_e32 v99, 0, v73, vcc_lo
.LBB2_258:                              ;   in Loop: Header=BB2_131 Depth=3
	s_or_b32 exec_lo, exec_lo, s25
.LBB2_259:                              ;   in Loop: Header=BB2_131 Depth=3
	s_or_b32 exec_lo, exec_lo, s24
	v_cmp_gt_i16_sdwa s24, v22, v40 src0_sel:BYTE_3 src1_sel:DWORD
	s_mov_b32 s11, 0
	s_and_saveexec_b32 s25, s24
	s_xor_b32 s24, exec_lo, s25
	s_cbranch_execnz .LBB2_329
; %bb.260:                              ;   in Loop: Header=BB2_131 Depth=3
	s_or_saveexec_b32 s24, s24
	v_mov_b32_e32 v73, 0x7f800001
	s_xor_b32 exec_lo, exec_lo, s24
	s_cbranch_execnz .LBB2_332
.LBB2_261:                              ;   in Loop: Header=BB2_131 Depth=3
	s_or_b32 exec_lo, exec_lo, s24
	s_and_saveexec_b32 s24, s11
	s_cbranch_execz .LBB2_263
.LBB2_262:                              ;   in Loop: Header=BB2_131 Depth=3
	v_bfe_u32 v73, v22, 24, 2
	v_bfe_u32 v76, v22, 26, 5
	v_ffbh_u32_e32 v74, v73
	v_cmp_eq_u32_e32 vcc_lo, 0, v76
	v_min_u32_e32 v74, 32, v74
	v_subrev_nc_u32_e32 v75, 29, v74
	v_sub_nc_u32_e32 v74, 30, v74
	v_lshlrev_b32_sdwa v75, v75, v22 dst_sel:DWORD dst_unused:UNUSED_PAD src0_sel:DWORD src1_sel:BYTE_3
	v_cndmask_b32_e32 v74, v76, v74, vcc_lo
	v_and_b32_e32 v22, 0x80000000, v22
	v_and_b32_e32 v75, 3, v75
	v_lshl_add_u32 v74, v74, 23, 0x37800000
	v_cndmask_b32_e32 v73, v73, v75, vcc_lo
	v_lshlrev_b32_e32 v73, 21, v73
	v_or3_b32 v73, v22, v74, v73
.LBB2_263:                              ;   in Loop: Header=BB2_131 Depth=3
	s_or_b32 exec_lo, exec_lo, s24
	v_cmp_gt_i16_sdwa s24, v54, v40 src0_sel:BYTE_3 src1_sel:DWORD
	s_mov_b32 s11, 0
	s_and_saveexec_b32 s25, s24
	s_xor_b32 s24, exec_lo, s25
	s_cbranch_execnz .LBB2_333
; %bb.264:                              ;   in Loop: Header=BB2_131 Depth=3
	s_or_saveexec_b32 s24, s24
	v_mov_b32_e32 v22, 0x7f800001
	s_xor_b32 exec_lo, exec_lo, s24
	s_cbranch_execnz .LBB2_336
.LBB2_265:                              ;   in Loop: Header=BB2_131 Depth=3
	s_or_b32 exec_lo, exec_lo, s24
	s_and_saveexec_b32 s24, s11
	s_cbranch_execz .LBB2_267
.LBB2_266:                              ;   in Loop: Header=BB2_131 Depth=3
	v_bfe_u32 v22, v54, 24, 2
	v_bfe_u32 v76, v54, 26, 5
	v_ffbh_u32_e32 v74, v22
	v_cmp_eq_u32_e32 vcc_lo, 0, v76
	v_min_u32_e32 v74, 32, v74
	v_subrev_nc_u32_e32 v75, 29, v74
	v_sub_nc_u32_e32 v74, 30, v74
	v_lshlrev_b32_sdwa v75, v75, v54 dst_sel:DWORD dst_unused:UNUSED_PAD src0_sel:DWORD src1_sel:BYTE_3
	v_cndmask_b32_e32 v74, v76, v74, vcc_lo
	v_and_b32_e32 v54, 0x80000000, v54
	v_and_b32_e32 v75, 3, v75
	v_lshl_add_u32 v74, v74, 23, 0x37800000
	v_cndmask_b32_e32 v22, v22, v75, vcc_lo
	v_lshlrev_b32_e32 v22, 21, v22
	v_or3_b32 v22, v54, v74, v22
.LBB2_267:                              ;   in Loop: Header=BB2_131 Depth=3
	s_or_b32 exec_lo, exec_lo, s24
	v_mul_f32_e32 v22, v73, v22
	v_and_b32_e32 v54, 0x7f800000, v22
	v_cmp_ne_u32_e32 vcc_lo, 0x7f800000, v54
	v_mov_b32_e32 v54, 0x8000
	s_and_saveexec_b32 s24, vcc_lo
	s_cbranch_execz .LBB2_130
; %bb.268:                              ;   in Loop: Header=BB2_131 Depth=3
	v_mov_b32_e32 v54, 0
	s_mov_b32 s25, exec_lo
	v_cmpx_ne_u32_e32 0, v22
	s_cbranch_execz .LBB2_129
; %bb.269:                              ;   in Loop: Header=BB2_131 Depth=3
	v_bfe_u32 v54, v22, 23, 8
	v_and_b32_e32 v73, 0x7fffff, v22
	v_sub_nc_u32_e32 v74, 0x70, v54
	v_cmp_gt_u32_e32 vcc_lo, 0x71, v54
	v_or_b32_e32 v75, 0x800000, v73
	v_cndmask_b32_e32 v74, 0, v74, vcc_lo
	v_cmp_eq_u32_e32 vcc_lo, 0, v54
	v_add_nc_u32_e32 v54, 0xffffff91, v54
	v_cndmask_b32_e64 v74, v74, 0x6f, vcc_lo
	v_cndmask_b32_e32 v73, v75, v73, vcc_lo
	v_cndmask_b32_e64 v54, v54, 0xffffff92, vcc_lo
	v_lshl_add_u32 v75, 0x200000, v74, -1
	v_lshrrev_b32_e32 v76, v74, v73
	v_lshlrev_b32_e64 v78, v74, 0x100000
	v_add_nc_u32_e32 v74, v74, v54
	v_and_b32_e32 v73, v75, v73
	v_bfe_u32 v77, v76, 21, 1
	v_cmp_eq_u32_e64 s11, v73, v78
	v_add_nc_u32_e32 v75, -1, v77
	v_cndmask_b32_e64 v73, 0, v75, s11
	v_lshrrev_b32_e32 v75, 23, v76
	s_mov_b32 s11, exec_lo
	v_add_nc_u32_e32 v73, v73, v76
	v_xor_b32_e32 v75, 1, v75
	v_and_b32_e32 v54, 0x1fffff, v73
	v_add_nc_u32_e32 v73, v54, v76
                                        ; implicit-def: $vgpr54
	v_cmpx_ne_u32_e64 v74, v75
	s_xor_b32 s11, exec_lo, s11
; %bb.270:                              ;   in Loop: Header=BB2_131 Depth=3
	v_cmp_lt_u32_e32 vcc_lo, 0xffffff, v73
	v_sub_nc_u32_e32 v54, v74, v75
	v_cndmask_b32_e64 v74, 0, 1, vcc_lo
	v_add_co_ci_u32_e64 v54, null, 0, v54, vcc_lo
	v_lshrrev_b32_e32 v73, v74, v73
; %bb.271:                              ;   in Loop: Header=BB2_131 Depth=3
	s_andn2_saveexec_b32 s11, s11
	s_cbranch_execz .LBB2_128
; %bb.272:                              ;   in Loop: Header=BB2_131 Depth=3
	v_bfe_u32 v54, v73, 23, 1
	s_branch .LBB2_128
.LBB2_273:                              ;   in Loop: Header=BB2_131 Depth=3
	v_cmp_eq_u16_sdwa s26, v20, v41 src0_sel:BYTE_0 src1_sel:DWORD
	s_mov_b32 s11, -1
	s_and_saveexec_b32 s25, s26
; %bb.274:                              ;   in Loop: Header=BB2_131 Depth=3
	s_xor_b32 s11, exec_lo, -1
; %bb.275:                              ;   in Loop: Header=BB2_131 Depth=3
	s_or_b32 exec_lo, exec_lo, s25
	s_and_b32 s11, s11, exec_lo
	s_or_saveexec_b32 s24, s24
	v_mov_b32_e32 v21, 0x7f800001
	s_xor_b32 exec_lo, exec_lo, s24
	s_cbranch_execz .LBB2_149
.LBB2_276:                              ;   in Loop: Header=BB2_131 Depth=3
	v_cmp_ne_u16_sdwa s25, v20, v55 src0_sel:BYTE_0 src1_sel:DWORD
	v_mov_b32_e32 v21, 0
	s_andn2_b32 s11, s11, exec_lo
	s_and_b32 s25, s25, exec_lo
	s_or_b32 s11, s11, s25
	s_or_b32 exec_lo, exec_lo, s24
	s_and_saveexec_b32 s24, s11
	s_cbranch_execnz .LBB2_150
	s_branch .LBB2_151
.LBB2_277:                              ;   in Loop: Header=BB2_131 Depth=3
	v_cmp_eq_u16_sdwa s26, v85, v41 src0_sel:BYTE_0 src1_sel:DWORD
	s_mov_b32 s11, -1
	s_and_saveexec_b32 s25, s26
; %bb.278:                              ;   in Loop: Header=BB2_131 Depth=3
	s_xor_b32 s11, exec_lo, -1
; %bb.279:                              ;   in Loop: Header=BB2_131 Depth=3
	s_or_b32 exec_lo, exec_lo, s25
	s_and_b32 s11, s11, exec_lo
	s_or_saveexec_b32 s24, s24
	v_mov_b32_e32 v18, 0x7f800001
	s_xor_b32 exec_lo, exec_lo, s24
	s_cbranch_execz .LBB2_153
.LBB2_280:                              ;   in Loop: Header=BB2_131 Depth=3
	v_cmp_ne_u16_sdwa s25, v85, v55 src0_sel:BYTE_0 src1_sel:DWORD
	v_mov_b32_e32 v18, 0
	s_andn2_b32 s11, s11, exec_lo
	s_and_b32 s25, s25, exec_lo
	s_or_b32 s11, s11, s25
	s_or_b32 exec_lo, exec_lo, s24
	s_and_saveexec_b32 s24, s11
	s_cbranch_execnz .LBB2_154
	s_branch .LBB2_155
.LBB2_281:                              ;   in Loop: Header=BB2_131 Depth=3
	v_cmp_eq_u16_sdwa s26, v20, v41 src0_sel:BYTE_1 src1_sel:DWORD
	s_mov_b32 s11, -1
	s_and_saveexec_b32 s25, s26
; %bb.282:                              ;   in Loop: Header=BB2_131 Depth=3
	s_xor_b32 s11, exec_lo, -1
; %bb.283:                              ;   in Loop: Header=BB2_131 Depth=3
	s_or_b32 exec_lo, exec_lo, s25
	s_and_b32 s11, s11, exec_lo
	s_or_saveexec_b32 s24, s24
	v_mov_b32_e32 v21, 0x7f800001
	s_xor_b32 exec_lo, exec_lo, s24
	s_cbranch_execz .LBB2_165
.LBB2_284:                              ;   in Loop: Header=BB2_131 Depth=3
	v_cmp_ne_u16_sdwa s25, v20, v55 src0_sel:BYTE_1 src1_sel:DWORD
	v_mov_b32_e32 v21, 0
	s_andn2_b32 s11, s11, exec_lo
	s_and_b32 s25, s25, exec_lo
	s_or_b32 s11, s11, s25
	s_or_b32 exec_lo, exec_lo, s24
	s_and_saveexec_b32 s24, s11
	s_cbranch_execnz .LBB2_166
	s_branch .LBB2_167
.LBB2_285:                              ;   in Loop: Header=BB2_131 Depth=3
	v_cmp_eq_u16_sdwa s26, v85, v41 src0_sel:BYTE_1 src1_sel:DWORD
	s_mov_b32 s11, -1
	s_and_saveexec_b32 s25, s26
; %bb.286:                              ;   in Loop: Header=BB2_131 Depth=3
	s_xor_b32 s11, exec_lo, -1
; %bb.287:                              ;   in Loop: Header=BB2_131 Depth=3
	s_or_b32 exec_lo, exec_lo, s25
	s_and_b32 s11, s11, exec_lo
	s_or_saveexec_b32 s24, s24
	v_mov_b32_e32 v23, 0x7f800001
	s_xor_b32 exec_lo, exec_lo, s24
	s_cbranch_execz .LBB2_169
.LBB2_288:                              ;   in Loop: Header=BB2_131 Depth=3
	v_cmp_ne_u16_sdwa s25, v85, v55 src0_sel:BYTE_1 src1_sel:DWORD
	v_mov_b32_e32 v23, 0
	s_andn2_b32 s11, s11, exec_lo
	s_and_b32 s25, s25, exec_lo
	s_or_b32 s11, s11, s25
	s_or_b32 exec_lo, exec_lo, s24
	s_and_saveexec_b32 s24, s11
	s_cbranch_execnz .LBB2_170
	s_branch .LBB2_171
.LBB2_289:                              ;   in Loop: Header=BB2_131 Depth=3
	s_mov_b32 s11, -1
	s_mov_b32 s25, exec_lo
	v_cmpx_eq_u16_e32 0x80, v98
; %bb.290:                              ;   in Loop: Header=BB2_131 Depth=3
	s_xor_b32 s11, exec_lo, -1
; %bb.291:                              ;   in Loop: Header=BB2_131 Depth=3
	s_or_b32 exec_lo, exec_lo, s25
	s_and_b32 s11, s11, exec_lo
                                        ; implicit-def: $vgpr98
	s_or_saveexec_b32 s24, s24
	v_mov_b32_e32 v23, 0x7f800001
	s_xor_b32 exec_lo, exec_lo, s24
	s_cbranch_execz .LBB2_181
.LBB2_292:                              ;   in Loop: Header=BB2_131 Depth=3
	v_cmp_ne_u16_e32 vcc_lo, 0, v98
	v_mov_b32_e32 v23, 0
	s_andn2_b32 s11, s11, exec_lo
	s_and_b32 s25, vcc_lo, exec_lo
	s_or_b32 s11, s11, s25
	s_or_b32 exec_lo, exec_lo, s24
	s_and_saveexec_b32 s24, s11
	s_cbranch_execnz .LBB2_182
	s_branch .LBB2_183
.LBB2_293:                              ;   in Loop: Header=BB2_131 Depth=3
	s_mov_b32 s11, -1
	s_mov_b32 s25, exec_lo
	v_cmpx_eq_u16_e32 0x80, v99
; %bb.294:                              ;   in Loop: Header=BB2_131 Depth=3
	s_xor_b32 s11, exec_lo, -1
; %bb.295:                              ;   in Loop: Header=BB2_131 Depth=3
	s_or_b32 exec_lo, exec_lo, s25
	s_and_b32 s11, s11, exec_lo
                                        ; implicit-def: $vgpr99
	s_or_saveexec_b32 s24, s24
	v_mov_b32_e32 v98, 0x7f800001
	s_xor_b32 exec_lo, exec_lo, s24
	s_cbranch_execz .LBB2_185
.LBB2_296:                              ;   in Loop: Header=BB2_131 Depth=3
	v_cmp_ne_u16_e32 vcc_lo, 0, v99
	v_mov_b32_e32 v98, 0
	s_andn2_b32 s11, s11, exec_lo
	s_and_b32 s25, vcc_lo, exec_lo
	s_or_b32 s11, s11, s25
	s_or_b32 exec_lo, exec_lo, s24
	s_and_saveexec_b32 s24, s11
	s_cbranch_execnz .LBB2_186
	s_branch .LBB2_187
.LBB2_297:                              ;   in Loop: Header=BB2_131 Depth=3
	v_cmp_eq_u16_sdwa s26, v20, v41 src0_sel:BYTE_3 src1_sel:DWORD
	s_mov_b32 s11, -1
	s_and_saveexec_b32 s25, s26
; %bb.298:                              ;   in Loop: Header=BB2_131 Depth=3
	s_xor_b32 s11, exec_lo, -1
; %bb.299:                              ;   in Loop: Header=BB2_131 Depth=3
	s_or_b32 exec_lo, exec_lo, s25
	s_and_b32 s11, s11, exec_lo
	s_or_saveexec_b32 s24, s24
	v_mov_b32_e32 v98, 0x7f800001
	s_xor_b32 exec_lo, exec_lo, s24
	s_cbranch_execz .LBB2_197
.LBB2_300:                              ;   in Loop: Header=BB2_131 Depth=3
	v_cmp_ne_u16_sdwa s25, v20, v55 src0_sel:BYTE_3 src1_sel:DWORD
	v_mov_b32_e32 v98, 0
	s_andn2_b32 s11, s11, exec_lo
	s_and_b32 s25, s25, exec_lo
	s_or_b32 s11, s11, s25
	s_or_b32 exec_lo, exec_lo, s24
	s_and_saveexec_b32 s24, s11
	s_cbranch_execnz .LBB2_198
	s_branch .LBB2_199
.LBB2_301:                              ;   in Loop: Header=BB2_131 Depth=3
	v_cmp_eq_u16_sdwa s26, v85, v41 src0_sel:BYTE_3 src1_sel:DWORD
	s_mov_b32 s11, -1
	s_and_saveexec_b32 s25, s26
; %bb.302:                              ;   in Loop: Header=BB2_131 Depth=3
	s_xor_b32 s11, exec_lo, -1
; %bb.303:                              ;   in Loop: Header=BB2_131 Depth=3
	s_or_b32 exec_lo, exec_lo, s25
	s_and_b32 s11, s11, exec_lo
	s_or_saveexec_b32 s24, s24
	v_mov_b32_e32 v20, 0x7f800001
	s_xor_b32 exec_lo, exec_lo, s24
	s_cbranch_execz .LBB2_201
.LBB2_304:                              ;   in Loop: Header=BB2_131 Depth=3
	v_cmp_ne_u16_sdwa s25, v85, v55 src0_sel:BYTE_3 src1_sel:DWORD
	v_mov_b32_e32 v20, 0
	s_andn2_b32 s11, s11, exec_lo
	s_and_b32 s25, s25, exec_lo
	s_or_b32 s11, s11, s25
	s_or_b32 exec_lo, exec_lo, s24
	s_and_saveexec_b32 s24, s11
	s_cbranch_execnz .LBB2_202
	s_branch .LBB2_203
.LBB2_305:                              ;   in Loop: Header=BB2_131 Depth=3
	v_cmp_eq_u16_sdwa s26, v22, v41 src0_sel:BYTE_0 src1_sel:DWORD
	s_mov_b32 s11, -1
	s_and_saveexec_b32 s25, s26
; %bb.306:                              ;   in Loop: Header=BB2_131 Depth=3
	s_xor_b32 s11, exec_lo, -1
; %bb.307:                              ;   in Loop: Header=BB2_131 Depth=3
	s_or_b32 exec_lo, exec_lo, s25
	s_and_b32 s11, s11, exec_lo
	s_or_saveexec_b32 s24, s24
	v_mov_b32_e32 v85, 0x7f800001
	s_xor_b32 exec_lo, exec_lo, s24
	s_cbranch_execz .LBB2_213
.LBB2_308:                              ;   in Loop: Header=BB2_131 Depth=3
	v_cmp_ne_u16_sdwa s25, v22, v55 src0_sel:BYTE_0 src1_sel:DWORD
	v_mov_b32_e32 v85, 0
	s_andn2_b32 s11, s11, exec_lo
	s_and_b32 s25, s25, exec_lo
	s_or_b32 s11, s11, s25
	s_or_b32 exec_lo, exec_lo, s24
	s_and_saveexec_b32 s24, s11
	s_cbranch_execnz .LBB2_214
	s_branch .LBB2_215
.LBB2_309:                              ;   in Loop: Header=BB2_131 Depth=3
	v_cmp_eq_u16_sdwa s26, v54, v41 src0_sel:BYTE_0 src1_sel:DWORD
	s_mov_b32 s11, -1
	s_and_saveexec_b32 s25, s26
; %bb.310:                              ;   in Loop: Header=BB2_131 Depth=3
	s_xor_b32 s11, exec_lo, -1
; %bb.311:                              ;   in Loop: Header=BB2_131 Depth=3
	s_or_b32 exec_lo, exec_lo, s25
	s_and_b32 s11, s11, exec_lo
	s_or_saveexec_b32 s24, s24
	v_mov_b32_e32 v98, 0x7f800001
	s_xor_b32 exec_lo, exec_lo, s24
	s_cbranch_execz .LBB2_217
.LBB2_312:                              ;   in Loop: Header=BB2_131 Depth=3
	v_cmp_ne_u16_sdwa s25, v54, v55 src0_sel:BYTE_0 src1_sel:DWORD
	v_mov_b32_e32 v98, 0
	s_andn2_b32 s11, s11, exec_lo
	s_and_b32 s25, s25, exec_lo
	s_or_b32 s11, s11, s25
	s_or_b32 exec_lo, exec_lo, s24
	s_and_saveexec_b32 s24, s11
	s_cbranch_execnz .LBB2_218
	s_branch .LBB2_219
.LBB2_313:                              ;   in Loop: Header=BB2_131 Depth=3
	v_cmp_eq_u16_sdwa s26, v22, v41 src0_sel:BYTE_1 src1_sel:DWORD
	s_mov_b32 s11, -1
	s_and_saveexec_b32 s25, s26
; %bb.314:                              ;   in Loop: Header=BB2_131 Depth=3
	s_xor_b32 s11, exec_lo, -1
; %bb.315:                              ;   in Loop: Header=BB2_131 Depth=3
	s_or_b32 exec_lo, exec_lo, s25
	s_and_b32 s11, s11, exec_lo
	s_or_saveexec_b32 s24, s24
	v_mov_b32_e32 v98, 0x7f800001
	s_xor_b32 exec_lo, exec_lo, s24
	s_cbranch_execz .LBB2_229
.LBB2_316:                              ;   in Loop: Header=BB2_131 Depth=3
	v_cmp_ne_u16_sdwa s25, v22, v55 src0_sel:BYTE_1 src1_sel:DWORD
	v_mov_b32_e32 v98, 0
	s_andn2_b32 s11, s11, exec_lo
	s_and_b32 s25, s25, exec_lo
	s_or_b32 s11, s11, s25
	s_or_b32 exec_lo, exec_lo, s24
	s_and_saveexec_b32 s24, s11
	s_cbranch_execnz .LBB2_230
	s_branch .LBB2_231
.LBB2_317:                              ;   in Loop: Header=BB2_131 Depth=3
	v_cmp_eq_u16_sdwa s26, v54, v41 src0_sel:BYTE_1 src1_sel:DWORD
	s_mov_b32 s11, -1
	s_and_saveexec_b32 s25, s26
; %bb.318:                              ;   in Loop: Header=BB2_131 Depth=3
	s_xor_b32 s11, exec_lo, -1
; %bb.319:                              ;   in Loop: Header=BB2_131 Depth=3
	s_or_b32 exec_lo, exec_lo, s25
	s_and_b32 s11, s11, exec_lo
	s_or_saveexec_b32 s24, s24
	v_mov_b32_e32 v99, 0x7f800001
	s_xor_b32 exec_lo, exec_lo, s24
	s_cbranch_execz .LBB2_233
.LBB2_320:                              ;   in Loop: Header=BB2_131 Depth=3
	v_cmp_ne_u16_sdwa s25, v54, v55 src0_sel:BYTE_1 src1_sel:DWORD
	v_mov_b32_e32 v99, 0
	s_andn2_b32 s11, s11, exec_lo
	s_and_b32 s25, s25, exec_lo
	s_or_b32 s11, s11, s25
	s_or_b32 exec_lo, exec_lo, s24
	s_and_saveexec_b32 s24, s11
	s_cbranch_execnz .LBB2_234
	s_branch .LBB2_235
.LBB2_321:                              ;   in Loop: Header=BB2_131 Depth=3
	s_mov_b32 s11, -1
	s_mov_b32 s25, exec_lo
	v_cmpx_eq_u16_e32 0x80, v73
; %bb.322:                              ;   in Loop: Header=BB2_131 Depth=3
	s_xor_b32 s11, exec_lo, -1
; %bb.323:                              ;   in Loop: Header=BB2_131 Depth=3
	s_or_b32 exec_lo, exec_lo, s25
	s_and_b32 s11, s11, exec_lo
                                        ; implicit-def: $vgpr73
	s_or_saveexec_b32 s24, s24
	v_mov_b32_e32 v99, 0x7f800001
	s_xor_b32 exec_lo, exec_lo, s24
	s_cbranch_execz .LBB2_245
.LBB2_324:                              ;   in Loop: Header=BB2_131 Depth=3
	v_cmp_ne_u16_e32 vcc_lo, 0, v73
	v_mov_b32_e32 v99, 0
	s_andn2_b32 s11, s11, exec_lo
	s_and_b32 s25, vcc_lo, exec_lo
	s_or_b32 s11, s11, s25
	s_or_b32 exec_lo, exec_lo, s24
	s_and_saveexec_b32 s24, s11
	s_cbranch_execnz .LBB2_246
	s_branch .LBB2_247
.LBB2_325:                              ;   in Loop: Header=BB2_131 Depth=3
	s_mov_b32 s11, -1
	s_mov_b32 s25, exec_lo
	v_cmpx_eq_u16_e32 0x80, v74
; %bb.326:                              ;   in Loop: Header=BB2_131 Depth=3
	s_xor_b32 s11, exec_lo, -1
; %bb.327:                              ;   in Loop: Header=BB2_131 Depth=3
	s_or_b32 exec_lo, exec_lo, s25
	s_and_b32 s11, s11, exec_lo
                                        ; implicit-def: $vgpr74
	s_or_saveexec_b32 s24, s24
	v_mov_b32_e32 v73, 0x7f800001
	s_xor_b32 exec_lo, exec_lo, s24
	s_cbranch_execz .LBB2_249
.LBB2_328:                              ;   in Loop: Header=BB2_131 Depth=3
	v_cmp_ne_u16_e32 vcc_lo, 0, v74
	v_mov_b32_e32 v73, 0
	s_andn2_b32 s11, s11, exec_lo
	s_and_b32 s25, vcc_lo, exec_lo
	s_or_b32 s11, s11, s25
	s_or_b32 exec_lo, exec_lo, s24
	s_and_saveexec_b32 s24, s11
	s_cbranch_execnz .LBB2_250
	s_branch .LBB2_251
.LBB2_329:                              ;   in Loop: Header=BB2_131 Depth=3
	v_cmp_eq_u16_sdwa s26, v22, v41 src0_sel:BYTE_3 src1_sel:DWORD
	s_mov_b32 s11, -1
	s_and_saveexec_b32 s25, s26
; %bb.330:                              ;   in Loop: Header=BB2_131 Depth=3
	s_xor_b32 s11, exec_lo, -1
; %bb.331:                              ;   in Loop: Header=BB2_131 Depth=3
	s_or_b32 exec_lo, exec_lo, s25
	s_and_b32 s11, s11, exec_lo
	s_or_saveexec_b32 s24, s24
	v_mov_b32_e32 v73, 0x7f800001
	s_xor_b32 exec_lo, exec_lo, s24
	s_cbranch_execz .LBB2_261
.LBB2_332:                              ;   in Loop: Header=BB2_131 Depth=3
	v_cmp_ne_u16_sdwa s25, v22, v55 src0_sel:BYTE_3 src1_sel:DWORD
	v_mov_b32_e32 v73, 0
	s_andn2_b32 s11, s11, exec_lo
	s_and_b32 s25, s25, exec_lo
	s_or_b32 s11, s11, s25
	s_or_b32 exec_lo, exec_lo, s24
	s_and_saveexec_b32 s24, s11
	s_cbranch_execnz .LBB2_262
	s_branch .LBB2_263
.LBB2_333:                              ;   in Loop: Header=BB2_131 Depth=3
	v_cmp_eq_u16_sdwa s26, v54, v41 src0_sel:BYTE_3 src1_sel:DWORD
	s_mov_b32 s11, -1
	s_and_saveexec_b32 s25, s26
; %bb.334:                              ;   in Loop: Header=BB2_131 Depth=3
	s_xor_b32 s11, exec_lo, -1
; %bb.335:                              ;   in Loop: Header=BB2_131 Depth=3
	s_or_b32 exec_lo, exec_lo, s25
	s_and_b32 s11, s11, exec_lo
	s_or_saveexec_b32 s24, s24
	v_mov_b32_e32 v22, 0x7f800001
	s_xor_b32 exec_lo, exec_lo, s24
	s_cbranch_execz .LBB2_265
.LBB2_336:                              ;   in Loop: Header=BB2_131 Depth=3
	v_cmp_ne_u16_sdwa s25, v54, v55 src0_sel:BYTE_3 src1_sel:DWORD
	v_mov_b32_e32 v22, 0
	s_andn2_b32 s11, s11, exec_lo
	s_and_b32 s25, s25, exec_lo
	s_or_b32 s11, s11, s25
	s_or_b32 exec_lo, exec_lo, s24
	s_and_saveexec_b32 s24, s11
	s_cbranch_execnz .LBB2_266
	s_branch .LBB2_267
.LBB2_337:                              ;   in Loop: Header=BB2_85 Depth=2
	s_or_b32 exec_lo, exec_lo, s23
	s_or_b32 exec_lo, exec_lo, s12
	s_and_saveexec_b32 s11, s7
	s_cbranch_execz .LBB2_122
.LBB2_338:                              ;   in Loop: Header=BB2_85 Depth=2
	s_and_saveexec_b32 s12, s19
	s_xor_b32 s12, exec_lo, s12
	s_cbranch_execz .LBB2_353
; %bb.339:                              ;   in Loop: Header=BB2_85 Depth=2
	s_and_saveexec_b32 s23, s8
	s_cbranch_execz .LBB2_352
; %bb.340:                              ;   in Loop: Header=BB2_85 Depth=2
	s_mov_b32 s25, exec_lo
	s_mov_b32 s24, exec_lo
	v_mbcnt_lo_u32_b32 v18, s25, 0
	s_waitcnt vmcnt(0) lgkmcnt(0)
	s_waitcnt_vscnt null, 0x0
	buffer_gl1_inv
	buffer_gl0_inv
	v_cmpx_eq_u32_e32 0, v18
	s_cbranch_execz .LBB2_342
; %bb.341:                              ;   in Loop: Header=BB2_85 Depth=2
	s_bcnt1_i32_b32 s25, s25
	v_mov_b32_e32 v54, s25
	ds_add_u64 v0, v[54:55]
	s_trap 2
.LBB2_342:                              ;   in Loop: Header=BB2_85 Depth=2
	s_or_b32 exec_lo, exec_lo, s24
	s_trap 2
	ds_read_b64 v[20:21], v0
	s_waitcnt lgkmcnt(0)
	buffer_gl0_inv
	v_add_co_u32 v2, vcc_lo, v2, v102
	v_add_co_ci_u32_e64 v3, null, 0, v3, vcc_lo
	s_mov_b32 s24, exec_lo
	v_cmpx_lt_u64_e64 v[20:21], v[2:3]
	s_cbranch_execz .LBB2_351
; %bb.343:                              ;   in Loop: Header=BB2_85 Depth=2
	s_mov_b32 s25, 0
	s_mov_b32 s28, 0
                                        ; implicit-def: $sgpr26
                                        ; implicit-def: $sgpr27
	s_inst_prefetch 0x1
	s_branch .LBB2_345
	.p2align	6
.LBB2_344:                              ;   in Loop: Header=BB2_345 Depth=3
	s_or_b32 exec_lo, exec_lo, s40
	s_and_b32 s29, exec_lo, s41
	s_or_b32 s25, s29, s25
	s_andn2_b32 s26, s26, exec_lo
	s_and_b32 s29, s27, exec_lo
	s_or_b32 s26, s26, s29
	s_andn2_b32 exec_lo, exec_lo, s25
	s_cbranch_execz .LBB2_349
.LBB2_345:                              ;   Parent Loop BB2_36 Depth=1
                                        ;     Parent Loop BB2_85 Depth=2
                                        ; =>    This Inner Loop Header: Depth=3
	s_add_i32 s28, s28, 1
	s_cmpk_lg_i32 s28, 0x2710
	s_cselect_b32 s29, -1, 0
	s_and_b32 vcc_lo, exec_lo, s29
	s_cbranch_vccz .LBB2_347
; %bb.346:                              ;   in Loop: Header=BB2_345 Depth=3
	s_mov_b32 s41, -1
	s_or_b32 s27, s27, exec_lo
	s_and_saveexec_b32 s40, s29
	s_cbranch_execz .LBB2_344
	s_branch .LBB2_348
	.p2align	6
.LBB2_347:                              ;   in Loop: Header=BB2_345 Depth=3
	s_trap 2
	ds_read_b64 v[20:21], v0
	s_andn2_b32 s29, s29, exec_lo
	s_mov_b32 s28, 0
	s_waitcnt lgkmcnt(0)
	flat_load_dword v18, v[20:21] glc dlc
	s_waitcnt vmcnt(0) lgkmcnt(0)
	buffer_gl1_inv
	buffer_gl0_inv
	v_cmp_eq_u32_e32 vcc_lo, 0, v18
	s_and_b32 s40, vcc_lo, exec_lo
	s_or_b32 s29, s29, s40
	s_mov_b32 s41, -1
	s_or_b32 s27, s27, exec_lo
	s_and_saveexec_b32 s40, s29
	s_cbranch_execz .LBB2_344
.LBB2_348:                              ;   in Loop: Header=BB2_345 Depth=3
	s_sleep 1
	s_trap 2
	ds_read_b64 v[20:21], v0
	s_waitcnt lgkmcnt(0)
	buffer_gl0_inv
	s_andn2_b32 s27, s27, exec_lo
	v_cmp_ge_u64_e32 vcc_lo, v[20:21], v[2:3]
	s_orn2_b32 s41, vcc_lo, exec_lo
	s_branch .LBB2_344
.LBB2_349:                              ;   in Loop: Header=BB2_85 Depth=2
	s_inst_prefetch 0x2
	s_or_b32 exec_lo, exec_lo, s25
	s_and_saveexec_b32 s25, s26
	s_xor_b32 s25, exec_lo, s25
	s_cbranch_execz .LBB2_351
; %bb.350:                              ;   in Loop: Header=BB2_85 Depth=2
	ds_write_b32 v0, v119
	s_trap 2
.LBB2_351:                              ;   in Loop: Header=BB2_85 Depth=2
	s_or_b32 exec_lo, exec_lo, s24
	;;#ASMSTART
	s_wakeup
	;;#ASMEND
.LBB2_352:                              ;   in Loop: Header=BB2_85 Depth=2
	s_or_b32 exec_lo, exec_lo, s23
.LBB2_353:                              ;   in Loop: Header=BB2_85 Depth=2
	s_andn2_saveexec_b32 s12, s12
	s_cbranch_execz .LBB2_355
; %bb.354:                              ;   in Loop: Header=BB2_85 Depth=2
	s_waitcnt vmcnt(0) lgkmcnt(0)
	s_waitcnt_vscnt null, 0x0
	buffer_gl1_inv
	buffer_gl0_inv
	s_barrier
.LBB2_355:                              ;   in Loop: Header=BB2_85 Depth=2
	s_or_b32 exec_lo, exec_lo, s12
	s_or_b32 exec_lo, exec_lo, s11
	s_and_saveexec_b32 s11, s9
	s_cbranch_execnz .LBB2_123
	s_branch .LBB2_124
.LBB2_356:                              ;   in Loop: Header=BB2_36 Depth=1
	v_mov_b32_e32 v22, v80
	v_mov_b32_e32 v23, v81
	s_and_saveexec_b32 s11, s10
	s_cbranch_execnz .LBB2_359
; %bb.357:                              ;   in Loop: Header=BB2_36 Depth=1
	s_or_b32 exec_lo, exec_lo, s11
	s_and_saveexec_b32 s10, s7
	s_cbranch_execnz .LBB2_588
.LBB2_358:                              ;   in Loop: Header=BB2_36 Depth=1
	s_or_b32 exec_lo, exec_lo, s10
	s_and_saveexec_b32 s10, s9
	s_cbranch_execz .LBB2_35
	s_branch .LBB2_606
.LBB2_359:                              ;   in Loop: Header=BB2_36 Depth=1
	flat_load_dword v54, v[24:25]
	v_and_b32_e32 v18, 7, v36
	s_waitcnt vmcnt(1) lgkmcnt(1)
	v_add_co_u32 v20, vcc_lo, v12, v56
	v_add_co_ci_u32_e64 v21, null, v13, v57, vcc_lo
	v_mul_lo_u32 v18, v18, s18
	v_add_nc_u32_e32 v85, 1, v36
	s_mov_b32 s12, 0
	v_ashrrev_i32_e32 v19, 31, v18
	v_lshlrev_b64 v[18:19], 4, v[18:19]
	s_waitcnt vmcnt(0) lgkmcnt(0)
	v_ashrrev_i32_e32 v80, 31, v54
	v_mul_lo_u32 v82, v100, v54
	v_mad_u64_u32 v[20:21], null, v30, v54, v[20:21]
	v_mul_lo_u32 v54, v30, v80
	v_add_co_u32 v80, vcc_lo, v115, v56
	v_add_co_ci_u32_e64 v81, null, v116, v57, vcc_lo
	v_add_co_u32 v86, vcc_lo, v34, v18
	v_add_co_ci_u32_e64 v87, null, v35, v19, vcc_lo
	v_add3_u32 v21, v82, v21, v54
	v_add_co_u32 v96, vcc_lo, v20, v101
	v_mov_b32_e32 v82, v4
	v_add_co_ci_u32_e64 v97, null, v21, v112, vcc_lo
	s_branch .LBB2_361
.LBB2_360:                              ;   in Loop: Header=BB2_361 Depth=2
	v_sub_nc_u32_e32 v46, v46, v103
	v_add_co_u32 v96, vcc_lo, v96, v103
	v_add_co_ci_u32_e64 v97, null, 0, v97, vcc_lo
	v_cmp_gt_i32_e32 vcc_lo, 1, v46
	v_add_co_u32 v80, s10, v80, v103
	v_add_co_ci_u32_e64 v81, null, 0, v81, s10
	v_add_nc_u32_e32 v82, v82, v1
	s_or_b32 s12, vcc_lo, s12
	s_andn2_b32 exec_lo, exec_lo, s12
	s_cbranch_execz .LBB2_587
.LBB2_361:                              ;   Parent Loop BB2_36 Depth=1
                                        ; =>  This Loop Header: Depth=2
                                        ;       Child Loop BB2_369 Depth 3
	v_and_b32_e32 v18, -4, v96
	v_mov_b32_e32 v19, v97
	v_min_u32_e32 v20, 8, v46
	v_and_b32_e32 v21, 3, v96
	v_mov_b32_e32 v98, 0
	v_mov_b32_e32 v99, 0
	global_load_dword v47, v[18:19], off slc
	s_mov_b32 s10, exec_lo
	v_add_nc_u32_e32 v54, v21, v20
	v_cmpx_lt_u32_e32 4, v54
	s_cbranch_execz .LBB2_363
; %bb.362:                              ;   in Loop: Header=BB2_361 Depth=2
	global_load_dword v99, v[18:19], off offset:4 slc
.LBB2_363:                              ;   in Loop: Header=BB2_361 Depth=2
	s_or_b32 exec_lo, exec_lo, s10
	s_mov_b32 s10, exec_lo
	v_cmpx_lt_u64_e32 8, v[54:55]
	s_cbranch_execz .LBB2_365
; %bb.364:                              ;   in Loop: Header=BB2_361 Depth=2
	global_load_dword v98, v[18:19], off offset:8 slc
.LBB2_365:                              ;   in Loop: Header=BB2_361 Depth=2
	s_or_b32 exec_lo, exec_lo, s10
	v_ashrrev_i32_e32 v83, 31, v82
	s_mov_b32 s22, exec_lo
	v_lshlrev_b64 v[18:19], 4, v[82:83]
	v_add_co_u32 v83, vcc_lo, v86, v18
	v_add_co_ci_u32_e64 v84, null, v87, v19, vcc_lo
	global_load_dwordx4 v[18:21], v[83:84], off slc
	v_cmpx_eq_u32_e32 0, v45
	s_cbranch_execz .LBB2_377
; %bb.366:                              ;   in Loop: Header=BB2_361 Depth=2
	s_waitcnt vmcnt(0)
	v_cmp_ne_u32_e32 vcc_lo, v85, v19
	v_cmp_ne_u32_e64 s10, v85, v21
	v_mov_b32_e32 v45, 0
	s_or_b32 s10, vcc_lo, s10
	s_and_saveexec_b32 s23, s10
	s_cbranch_execz .LBB2_376
; %bb.367:                              ;   in Loop: Header=BB2_361 Depth=2
	s_mov_b32 s27, 1
	s_mov_b32 s25, 0
                                        ; implicit-def: $sgpr24
                                        ; implicit-def: $sgpr26
	s_inst_prefetch 0x1
	s_branch .LBB2_369
	.p2align	6
.LBB2_368:                              ;   in Loop: Header=BB2_369 Depth=3
	s_or_b32 exec_lo, exec_lo, s29
	s_and_b32 s10, exec_lo, s10
	s_or_b32 s25, s10, s25
	s_andn2_b32 s10, s24, exec_lo
	s_and_b32 s24, s26, exec_lo
	s_or_b32 s24, s10, s24
	s_andn2_b32 exec_lo, exec_lo, s25
	s_cbranch_execz .LBB2_373
.LBB2_369:                              ;   Parent Loop BB2_36 Depth=1
                                        ;     Parent Loop BB2_361 Depth=2
                                        ; =>    This Inner Loop Header: Depth=3
	global_load_dwordx4 v[18:21], v[83:84], off slc
	s_add_i32 s27, s27, 1
	s_mov_b32 s10, -1
	s_cmpk_lg_i32 s27, 0x2710
	s_mov_b32 s28, -1
                                        ; implicit-def: $vgpr54
	s_cbranch_scc0 .LBB2_371
; %bb.370:                              ;   in Loop: Header=BB2_369 Depth=3
	s_or_b32 s26, s26, exec_lo
	s_and_saveexec_b32 s29, s28
	s_cbranch_execz .LBB2_368
	s_branch .LBB2_372
	.p2align	6
.LBB2_371:                              ;   in Loop: Header=BB2_369 Depth=3
	s_trap 2
	ds_read_b64 v[56:57], v0
	s_mov_b32 s27, 0
	s_waitcnt vmcnt(0) lgkmcnt(0)
	s_waitcnt_vscnt null, 0x0
	flat_load_dword v54, v[56:57] glc dlc
	s_waitcnt vmcnt(0) lgkmcnt(0)
	buffer_gl1_inv
	buffer_gl0_inv
	v_cmp_eq_u32_e32 vcc_lo, 0, v54
	s_orn2_b32 s28, vcc_lo, exec_lo
	s_or_b32 s26, s26, exec_lo
	s_and_saveexec_b32 s29, s28
	s_cbranch_execz .LBB2_368
.LBB2_372:                              ;   in Loop: Header=BB2_369 Depth=3
	s_waitcnt vmcnt(0)
	v_cmp_eq_u32_e32 vcc_lo, v85, v19
	v_cmp_eq_u32_e64 s10, v85, v21
	s_andn2_b32 s26, s26, exec_lo
	s_and_b32 s10, vcc_lo, s10
	s_orn2_b32 s10, s10, exec_lo
	s_branch .LBB2_368
.LBB2_373:                              ;   in Loop: Header=BB2_361 Depth=2
	s_inst_prefetch 0x2
	s_or_b32 exec_lo, exec_lo, s25
	v_mov_b32_e32 v45, 0
	s_and_saveexec_b32 s10, s24
	s_xor_b32 s10, exec_lo, s10
	s_cbranch_execz .LBB2_375
; %bb.374:                              ;   in Loop: Header=BB2_361 Depth=2
	v_mov_b32_e32 v45, 1
	s_waitcnt vmcnt(0)
	s_waitcnt_vscnt null, 0x0
	ds_write_b32 v0, v54
	s_trap 2
.LBB2_375:                              ;   in Loop: Header=BB2_361 Depth=2
	s_or_b32 exec_lo, exec_lo, s10
.LBB2_376:                              ;   in Loop: Header=BB2_361 Depth=2
	s_or_b32 exec_lo, exec_lo, s23
.LBB2_377:                              ;   in Loop: Header=BB2_361 Depth=2
	s_or_b32 exec_lo, exec_lo, s22
	s_waitcnt vmcnt(0)
	v_cmp_gt_i16_sdwa s22, v18, v40 src0_sel:BYTE_0 src1_sel:DWORD
	s_mov_b32 s10, 0
	s_and_saveexec_b32 s23, s22
	s_xor_b32 s22, exec_lo, s23
	s_cbranch_execnz .LBB2_523
; %bb.378:                              ;   in Loop: Header=BB2_361 Depth=2
	s_or_saveexec_b32 s22, s22
	v_mov_b32_e32 v19, 0x7f800001
	s_xor_b32 exec_lo, exec_lo, s22
	s_cbranch_execnz .LBB2_526
.LBB2_379:                              ;   in Loop: Header=BB2_361 Depth=2
	s_or_b32 exec_lo, exec_lo, s22
	s_and_saveexec_b32 s22, s10
	s_cbranch_execz .LBB2_381
.LBB2_380:                              ;   in Loop: Header=BB2_361 Depth=2
	v_and_b32_e32 v19, 3, v18
	v_bfe_u32 v83, v18, 2, 5
	v_lshlrev_b32_e32 v84, 24, v18
	v_ffbh_u32_e32 v21, v19
	v_cmp_eq_u32_e32 vcc_lo, 0, v83
	v_min_u32_e32 v21, 32, v21
	v_subrev_nc_u32_e32 v54, 29, v21
	v_sub_nc_u32_e32 v21, 30, v21
	v_lshlrev_b32_e32 v54, v54, v18
	v_cndmask_b32_e32 v21, v83, v21, vcc_lo
	v_and_b32_e32 v54, 3, v54
	v_lshl_add_u32 v21, v21, 23, 0x37800000
	v_cndmask_b32_e32 v19, v19, v54, vcc_lo
	v_and_b32_e32 v54, 0x80000000, v84
	v_lshlrev_b32_e32 v19, 21, v19
	v_or3_b32 v19, v54, v21, v19
.LBB2_381:                              ;   in Loop: Header=BB2_361 Depth=2
	s_or_b32 exec_lo, exec_lo, s22
	v_lshlrev_b32_e32 v83, 3, v96
	s_mov_b32 s10, 0
	v_alignbit_b32 v84, v99, v47, v83
	v_cmp_gt_i16_sdwa s22, v84, v40 src0_sel:BYTE_0 src1_sel:DWORD
	s_and_saveexec_b32 s23, s22
	s_xor_b32 s22, exec_lo, s23
	s_cbranch_execnz .LBB2_527
; %bb.382:                              ;   in Loop: Header=BB2_361 Depth=2
	s_or_saveexec_b32 s22, s22
	v_mov_b32_e32 v21, 0x7f800001
	s_xor_b32 exec_lo, exec_lo, s22
	s_cbranch_execnz .LBB2_530
.LBB2_383:                              ;   in Loop: Header=BB2_361 Depth=2
	s_or_b32 exec_lo, exec_lo, s22
	s_and_saveexec_b32 s22, s10
	s_cbranch_execz .LBB2_385
.LBB2_384:                              ;   in Loop: Header=BB2_361 Depth=2
	v_and_b32_e32 v21, 3, v84
	v_bfe_u32 v56, v84, 2, 5
	v_lshlrev_b32_e32 v57, 24, v84
	v_ffbh_u32_e32 v54, v21
	v_cmp_eq_u32_e32 vcc_lo, 0, v56
	v_min_u32_e32 v54, 32, v54
	v_subrev_nc_u32_e32 v47, 29, v54
	v_sub_nc_u32_e32 v54, 30, v54
	v_lshlrev_b32_e32 v47, v47, v84
	v_cndmask_b32_e32 v54, v56, v54, vcc_lo
	v_and_b32_e32 v47, 3, v47
	v_lshl_add_u32 v54, v54, 23, 0x37800000
	v_cndmask_b32_e32 v21, v21, v47, vcc_lo
	v_and_b32_e32 v47, 0x80000000, v57
	v_lshlrev_b32_e32 v21, 21, v21
	v_or3_b32 v21, v47, v54, v21
.LBB2_385:                              ;   in Loop: Header=BB2_361 Depth=2
	s_or_b32 exec_lo, exec_lo, s22
	v_mul_f32_e32 v21, v19, v21
	v_and_b32_e32 v19, 0x7f800000, v21
	v_cmp_ne_u32_e32 vcc_lo, 0x7f800000, v19
	v_mov_b32_e32 v19, 0x80
	s_and_saveexec_b32 s22, vcc_lo
	s_cbranch_execz .LBB2_393
; %bb.386:                              ;   in Loop: Header=BB2_361 Depth=2
	v_mov_b32_e32 v19, 0
	s_mov_b32 s23, exec_lo
	v_cmpx_ne_u32_e32 0, v21
	s_cbranch_execz .LBB2_392
; %bb.387:                              ;   in Loop: Header=BB2_361 Depth=2
	v_bfe_u32 v19, v21, 23, 8
	v_and_b32_e32 v54, 0x7fffff, v21
	v_sub_nc_u32_e32 v47, 0x70, v19
	v_cmp_gt_u32_e32 vcc_lo, 0x71, v19
	v_or_b32_e32 v56, 0x800000, v54
	v_cndmask_b32_e32 v47, 0, v47, vcc_lo
	v_cmp_eq_u32_e32 vcc_lo, 0, v19
	v_add_nc_u32_e32 v19, 0xffffff91, v19
	v_cndmask_b32_e64 v47, v47, 0x6f, vcc_lo
	v_cndmask_b32_e32 v54, v56, v54, vcc_lo
	v_cndmask_b32_e64 v19, v19, 0xffffff92, vcc_lo
	v_lshl_add_u32 v56, 0x200000, v47, -1
	v_lshrrev_b32_e32 v57, v47, v54
	v_lshlrev_b32_e64 v59, v47, 0x100000
	v_add_nc_u32_e32 v47, v47, v19
	v_and_b32_e32 v54, v56, v54
	v_bfe_u32 v58, v57, 21, 1
	v_cmp_eq_u32_e64 s10, v54, v59
	v_add_nc_u32_e32 v56, -1, v58
	v_cndmask_b32_e64 v54, 0, v56, s10
	v_lshrrev_b32_e32 v56, 23, v57
	s_mov_b32 s10, exec_lo
	v_add_nc_u32_e32 v54, v54, v57
	v_xor_b32_e32 v56, 1, v56
	v_and_b32_e32 v19, 0x1fffff, v54
	v_add_nc_u32_e32 v54, v19, v57
                                        ; implicit-def: $vgpr19
	v_cmpx_ne_u32_e64 v47, v56
	s_xor_b32 s10, exec_lo, s10
; %bb.388:                              ;   in Loop: Header=BB2_361 Depth=2
	v_cmp_lt_u32_e32 vcc_lo, 0xffffff, v54
	v_sub_nc_u32_e32 v19, v47, v56
	v_cndmask_b32_e64 v47, 0, 1, vcc_lo
	v_add_co_ci_u32_e64 v19, null, 0, v19, vcc_lo
	v_lshrrev_b32_e32 v54, v47, v54
; %bb.389:                              ;   in Loop: Header=BB2_361 Depth=2
	s_andn2_saveexec_b32 s10, s10
; %bb.390:                              ;   in Loop: Header=BB2_361 Depth=2
	v_bfe_u32 v19, v54, 23, 1
; %bb.391:                              ;   in Loop: Header=BB2_361 Depth=2
	s_or_b32 exec_lo, exec_lo, s10
	v_lshrrev_b32_e32 v54, 21, v54
	v_min_i32_e32 v47, 31, v19
	v_cmp_gt_i32_e32 vcc_lo, 32, v19
	v_and_b32_sdwa v21, v21, v41 dst_sel:DWORD dst_unused:UNUSED_PAD src0_sel:BYTE_3 src1_sel:DWORD
	v_lshlrev_b32_e32 v47, 2, v47
	v_cndmask_b32_e32 v54, 3, v54, vcc_lo
	v_and_b32_e32 v47, 0xfc, v47
	v_and_b32_e32 v56, 3, v54
	v_or_b32_e32 v19, v19, v54
	v_or3_b32 v21, v47, v21, v56
	v_cmp_ne_u32_e32 vcc_lo, 0, v19
	v_cndmask_b32_e32 v19, 0, v21, vcc_lo
.LBB2_392:                              ;   in Loop: Header=BB2_361 Depth=2
	s_or_b32 exec_lo, exec_lo, s23
.LBB2_393:                              ;   in Loop: Header=BB2_361 Depth=2
	s_or_b32 exec_lo, exec_lo, s22
	v_cmp_gt_i16_sdwa s22, v18, v40 src0_sel:BYTE_1 src1_sel:DWORD
	s_mov_b32 s10, 0
	s_and_saveexec_b32 s23, s22
	s_xor_b32 s22, exec_lo, s23
	s_cbranch_execnz .LBB2_531
; %bb.394:                              ;   in Loop: Header=BB2_361 Depth=2
	s_or_saveexec_b32 s22, s22
	v_mov_b32_e32 v21, 0x7f800001
	s_xor_b32 exec_lo, exec_lo, s22
	s_cbranch_execnz .LBB2_534
.LBB2_395:                              ;   in Loop: Header=BB2_361 Depth=2
	s_or_b32 exec_lo, exec_lo, s22
	s_and_saveexec_b32 s22, s10
	s_cbranch_execz .LBB2_397
.LBB2_396:                              ;   in Loop: Header=BB2_361 Depth=2
	v_and_b32_sdwa v21, v42, v18 dst_sel:DWORD dst_unused:UNUSED_PAD src0_sel:DWORD src1_sel:BYTE_1
	v_and_b32_e32 v54, 3, v21
	v_bfe_u32 v57, v21, 2, 5
	v_ffbh_u32_e32 v47, v54
	v_cmp_eq_u32_e32 vcc_lo, 0, v57
	v_min_u32_e32 v47, 32, v47
	v_subrev_nc_u32_e32 v56, 29, v47
	v_sub_nc_u32_e32 v47, 30, v47
	v_lshlrev_b32_e32 v21, v56, v21
	v_lshlrev_b32_sdwa v56, v43, v18 dst_sel:DWORD dst_unused:UNUSED_PAD src0_sel:DWORD src1_sel:BYTE_1
	v_cndmask_b32_e32 v47, v57, v47, vcc_lo
	v_and_b32_e32 v21, 3, v21
	v_lshl_add_u32 v47, v47, 23, 0x37800000
	v_cndmask_b32_e32 v21, v54, v21, vcc_lo
	v_and_b32_e32 v54, 0x80000000, v56
	v_lshlrev_b32_e32 v21, 21, v21
	v_or3_b32 v21, v54, v47, v21
.LBB2_397:                              ;   in Loop: Header=BB2_361 Depth=2
	s_or_b32 exec_lo, exec_lo, s22
	v_cmp_gt_i16_sdwa s22, v84, v40 src0_sel:BYTE_1 src1_sel:DWORD
	s_mov_b32 s10, 0
	s_and_saveexec_b32 s23, s22
	s_xor_b32 s22, exec_lo, s23
	s_cbranch_execnz .LBB2_535
; %bb.398:                              ;   in Loop: Header=BB2_361 Depth=2
	s_or_saveexec_b32 s22, s22
	v_mov_b32_e32 v54, 0x7f800001
	s_xor_b32 exec_lo, exec_lo, s22
	s_cbranch_execnz .LBB2_538
.LBB2_399:                              ;   in Loop: Header=BB2_361 Depth=2
	s_or_b32 exec_lo, exec_lo, s22
	s_and_saveexec_b32 s22, s10
	s_cbranch_execz .LBB2_401
.LBB2_400:                              ;   in Loop: Header=BB2_361 Depth=2
	v_and_b32_sdwa v54, v42, v84 dst_sel:DWORD dst_unused:UNUSED_PAD src0_sel:DWORD src1_sel:BYTE_1
	v_and_b32_e32 v47, 3, v54
	v_bfe_u32 v58, v54, 2, 5
	v_ffbh_u32_e32 v56, v47
	v_cmp_eq_u32_e32 vcc_lo, 0, v58
	v_min_u32_e32 v56, 32, v56
	v_subrev_nc_u32_e32 v57, 29, v56
	v_sub_nc_u32_e32 v56, 30, v56
	v_lshlrev_b32_e32 v54, v57, v54
	v_lshlrev_b32_sdwa v57, v43, v84 dst_sel:DWORD dst_unused:UNUSED_PAD src0_sel:DWORD src1_sel:BYTE_1
	v_cndmask_b32_e32 v56, v58, v56, vcc_lo
	v_and_b32_e32 v54, 3, v54
	v_lshl_add_u32 v56, v56, 23, 0x37800000
	v_cndmask_b32_e32 v54, v47, v54, vcc_lo
	v_and_b32_e32 v47, 0x80000000, v57
	v_lshlrev_b32_e32 v54, 21, v54
	v_or3_b32 v54, v47, v56, v54
.LBB2_401:                              ;   in Loop: Header=BB2_361 Depth=2
	s_or_b32 exec_lo, exec_lo, s22
	v_mul_f32_e32 v54, v21, v54
	v_and_b32_e32 v21, 0x7f800000, v54
	v_cmp_ne_u32_e32 vcc_lo, 0x7f800000, v21
	v_mov_b32_e32 v21, 0x8000
	s_and_saveexec_b32 s22, vcc_lo
	s_cbranch_execz .LBB2_409
; %bb.402:                              ;   in Loop: Header=BB2_361 Depth=2
	v_mov_b32_e32 v21, 0
	s_mov_b32 s23, exec_lo
	v_cmpx_ne_u32_e32 0, v54
	s_cbranch_execz .LBB2_408
; %bb.403:                              ;   in Loop: Header=BB2_361 Depth=2
	v_bfe_u32 v21, v54, 23, 8
	v_and_b32_e32 v47, 0x7fffff, v54
	v_sub_nc_u32_e32 v56, 0x70, v21
	v_cmp_gt_u32_e32 vcc_lo, 0x71, v21
	v_or_b32_e32 v57, 0x800000, v47
	v_cndmask_b32_e32 v56, 0, v56, vcc_lo
	v_cmp_eq_u32_e32 vcc_lo, 0, v21
	v_add_nc_u32_e32 v21, 0xffffff91, v21
	v_cndmask_b32_e64 v56, v56, 0x6f, vcc_lo
	v_cndmask_b32_e32 v47, v57, v47, vcc_lo
	v_cndmask_b32_e64 v21, v21, 0xffffff92, vcc_lo
	v_lshl_add_u32 v57, 0x200000, v56, -1
	v_lshrrev_b32_e32 v58, v56, v47
	v_lshlrev_b32_e64 v60, v56, 0x100000
	v_add_nc_u32_e32 v56, v56, v21
	v_and_b32_e32 v47, v57, v47
	v_bfe_u32 v59, v58, 21, 1
	v_cmp_eq_u32_e64 s10, v47, v60
	v_add_nc_u32_e32 v57, -1, v59
	v_cndmask_b32_e64 v47, 0, v57, s10
	v_lshrrev_b32_e32 v57, 23, v58
	s_mov_b32 s10, exec_lo
	v_add_nc_u32_e32 v47, v47, v58
	v_xor_b32_e32 v57, 1, v57
	v_and_b32_e32 v21, 0x1fffff, v47
	v_add_nc_u32_e32 v47, v21, v58
                                        ; implicit-def: $vgpr21
	v_cmpx_ne_u32_e64 v56, v57
	s_xor_b32 s10, exec_lo, s10
; %bb.404:                              ;   in Loop: Header=BB2_361 Depth=2
	v_cmp_lt_u32_e32 vcc_lo, 0xffffff, v47
	v_sub_nc_u32_e32 v21, v56, v57
	v_cndmask_b32_e64 v56, 0, 1, vcc_lo
	v_add_co_ci_u32_e64 v21, null, 0, v21, vcc_lo
	v_lshrrev_b32_e32 v47, v56, v47
; %bb.405:                              ;   in Loop: Header=BB2_361 Depth=2
	s_andn2_saveexec_b32 s10, s10
; %bb.406:                              ;   in Loop: Header=BB2_361 Depth=2
	v_bfe_u32 v21, v47, 23, 1
; %bb.407:                              ;   in Loop: Header=BB2_361 Depth=2
	s_or_b32 exec_lo, exec_lo, s10
	v_lshrrev_b32_e32 v47, 21, v47
	v_min_i32_e32 v56, 31, v21
	v_cmp_gt_i32_e32 vcc_lo, 32, v21
	v_and_b32_sdwa v54, v54, v41 dst_sel:DWORD dst_unused:UNUSED_PAD src0_sel:BYTE_3 src1_sel:DWORD
	v_lshlrev_b32_e32 v56, 2, v56
	v_cndmask_b32_e32 v47, 3, v47, vcc_lo
	v_and_b32_e32 v56, 0xfc, v56
	v_and_b32_e32 v57, 3, v47
	v_or_b32_e32 v21, v21, v47
	v_or3_b32 v54, v54, v56, v57
	v_cmp_ne_u32_e32 vcc_lo, 0, v21
	v_lshlrev_b32_e32 v54, 8, v54
	v_cndmask_b32_e32 v21, 0, v54, vcc_lo
.LBB2_408:                              ;   in Loop: Header=BB2_361 Depth=2
	s_or_b32 exec_lo, exec_lo, s23
.LBB2_409:                              ;   in Loop: Header=BB2_361 Depth=2
	s_or_b32 exec_lo, exec_lo, s22
	v_and_b32_sdwa v47, v18, v44 dst_sel:DWORD dst_unused:UNUSED_PAD src0_sel:WORD_1 src1_sel:DWORD
	s_mov_b32 s10, 0
	s_mov_b32 s22, exec_lo
	v_cmpx_lt_i16_e32 0x7f, v47
	s_xor_b32 s22, exec_lo, s22
	s_cbranch_execnz .LBB2_539
; %bb.410:                              ;   in Loop: Header=BB2_361 Depth=2
	s_or_saveexec_b32 s22, s22
	v_mov_b32_e32 v54, 0x7f800001
	s_xor_b32 exec_lo, exec_lo, s22
	s_cbranch_execnz .LBB2_542
.LBB2_411:                              ;   in Loop: Header=BB2_361 Depth=2
	s_or_b32 exec_lo, exec_lo, s22
	s_and_saveexec_b32 s22, s10
	s_cbranch_execz .LBB2_413
.LBB2_412:                              ;   in Loop: Header=BB2_361 Depth=2
	v_bfe_u32 v54, v18, 16, 2
	v_bfe_u32 v57, v18, 18, 5
	v_lshlrev_b32_e32 v58, 8, v18
	v_ffbh_u32_e32 v47, v54
	v_cmp_eq_u32_e32 vcc_lo, 0, v57
	v_min_u32_e32 v47, 32, v47
	v_subrev_nc_u32_e32 v56, 29, v47
	v_sub_nc_u32_e32 v47, 30, v47
	v_lshlrev_b32_sdwa v56, v56, v18 dst_sel:DWORD dst_unused:UNUSED_PAD src0_sel:DWORD src1_sel:WORD_1
	v_cndmask_b32_e32 v47, v57, v47, vcc_lo
	v_and_b32_e32 v56, 3, v56
	v_lshl_add_u32 v47, v47, 23, 0x37800000
	v_cndmask_b32_e32 v54, v54, v56, vcc_lo
	v_and_b32_e32 v56, 0x80000000, v58
	v_lshlrev_b32_e32 v54, 21, v54
	v_or3_b32 v54, v56, v47, v54
.LBB2_413:                              ;   in Loop: Header=BB2_361 Depth=2
	s_or_b32 exec_lo, exec_lo, s22
	v_and_b32_sdwa v56, v84, v44 dst_sel:DWORD dst_unused:UNUSED_PAD src0_sel:WORD_1 src1_sel:DWORD
	s_mov_b32 s10, 0
	s_mov_b32 s22, exec_lo
	v_cmpx_lt_i16_e32 0x7f, v56
	s_xor_b32 s22, exec_lo, s22
	s_cbranch_execnz .LBB2_543
; %bb.414:                              ;   in Loop: Header=BB2_361 Depth=2
	s_or_saveexec_b32 s22, s22
	v_mov_b32_e32 v47, 0x7f800001
	s_xor_b32 exec_lo, exec_lo, s22
	s_cbranch_execnz .LBB2_546
.LBB2_415:                              ;   in Loop: Header=BB2_361 Depth=2
	s_or_b32 exec_lo, exec_lo, s22
	s_and_saveexec_b32 s22, s10
	s_cbranch_execz .LBB2_417
.LBB2_416:                              ;   in Loop: Header=BB2_361 Depth=2
	v_bfe_u32 v47, v84, 16, 2
	v_bfe_u32 v58, v84, 18, 5
	v_lshlrev_b32_e32 v59, 8, v84
	v_ffbh_u32_e32 v56, v47
	v_cmp_eq_u32_e32 vcc_lo, 0, v58
	v_min_u32_e32 v56, 32, v56
	v_subrev_nc_u32_e32 v57, 29, v56
	v_sub_nc_u32_e32 v56, 30, v56
	v_lshlrev_b32_sdwa v57, v57, v84 dst_sel:DWORD dst_unused:UNUSED_PAD src0_sel:DWORD src1_sel:WORD_1
	v_cndmask_b32_e32 v56, v58, v56, vcc_lo
	v_and_b32_e32 v57, 3, v57
	v_lshl_add_u32 v56, v56, 23, 0x37800000
	v_cndmask_b32_e32 v47, v47, v57, vcc_lo
	v_and_b32_e32 v57, 0x80000000, v59
	v_lshlrev_b32_e32 v47, 21, v47
	v_or3_b32 v47, v57, v56, v47
.LBB2_417:                              ;   in Loop: Header=BB2_361 Depth=2
	s_or_b32 exec_lo, exec_lo, s22
	v_mul_f32_e32 v47, v54, v47
	v_and_b32_e32 v54, 0x7f800000, v47
	v_cmp_ne_u32_e32 vcc_lo, 0x7f800000, v54
	v_mov_b32_e32 v54, 0x80
	s_and_saveexec_b32 s22, vcc_lo
	s_cbranch_execz .LBB2_425
; %bb.418:                              ;   in Loop: Header=BB2_361 Depth=2
	v_mov_b32_e32 v54, 0
	s_mov_b32 s23, exec_lo
	v_cmpx_ne_u32_e32 0, v47
	s_cbranch_execz .LBB2_424
; %bb.419:                              ;   in Loop: Header=BB2_361 Depth=2
	v_bfe_u32 v54, v47, 23, 8
	v_and_b32_e32 v56, 0x7fffff, v47
	v_sub_nc_u32_e32 v57, 0x70, v54
	v_cmp_gt_u32_e32 vcc_lo, 0x71, v54
	v_or_b32_e32 v58, 0x800000, v56
	v_cndmask_b32_e32 v57, 0, v57, vcc_lo
	v_cmp_eq_u32_e32 vcc_lo, 0, v54
	v_add_nc_u32_e32 v54, 0xffffff91, v54
	v_cndmask_b32_e64 v57, v57, 0x6f, vcc_lo
	v_cndmask_b32_e32 v56, v58, v56, vcc_lo
	v_cndmask_b32_e64 v54, v54, 0xffffff92, vcc_lo
	v_lshl_add_u32 v58, 0x200000, v57, -1
	v_lshrrev_b32_e32 v59, v57, v56
	v_lshlrev_b32_e64 v61, v57, 0x100000
	v_add_nc_u32_e32 v57, v57, v54
	v_and_b32_e32 v56, v58, v56
	v_bfe_u32 v60, v59, 21, 1
	v_cmp_eq_u32_e64 s10, v56, v61
	v_add_nc_u32_e32 v58, -1, v60
	v_cndmask_b32_e64 v56, 0, v58, s10
	v_lshrrev_b32_e32 v58, 23, v59
	s_mov_b32 s10, exec_lo
	v_add_nc_u32_e32 v56, v56, v59
	v_xor_b32_e32 v58, 1, v58
	v_and_b32_e32 v54, 0x1fffff, v56
	v_add_nc_u32_e32 v56, v54, v59
                                        ; implicit-def: $vgpr54
	v_cmpx_ne_u32_e64 v57, v58
	s_xor_b32 s10, exec_lo, s10
; %bb.420:                              ;   in Loop: Header=BB2_361 Depth=2
	v_cmp_lt_u32_e32 vcc_lo, 0xffffff, v56
	v_sub_nc_u32_e32 v54, v57, v58
	v_cndmask_b32_e64 v57, 0, 1, vcc_lo
	v_add_co_ci_u32_e64 v54, null, 0, v54, vcc_lo
	v_lshrrev_b32_e32 v56, v57, v56
; %bb.421:                              ;   in Loop: Header=BB2_361 Depth=2
	s_andn2_saveexec_b32 s10, s10
; %bb.422:                              ;   in Loop: Header=BB2_361 Depth=2
	v_bfe_u32 v54, v56, 23, 1
; %bb.423:                              ;   in Loop: Header=BB2_361 Depth=2
	s_or_b32 exec_lo, exec_lo, s10
	v_lshrrev_b32_e32 v56, 21, v56
	v_min_i32_e32 v57, 31, v54
	v_cmp_gt_i32_e32 vcc_lo, 32, v54
	v_and_b32_sdwa v47, v47, v41 dst_sel:DWORD dst_unused:UNUSED_PAD src0_sel:BYTE_3 src1_sel:DWORD
	v_lshlrev_b32_e32 v57, 2, v57
	v_cndmask_b32_e32 v56, 3, v56, vcc_lo
	v_and_b32_e32 v57, 0xfc, v57
	v_and_b32_e32 v58, 3, v56
	v_or_b32_e32 v54, v54, v56
	v_or3_b32 v47, v57, v47, v58
	v_cmp_ne_u32_e32 vcc_lo, 0, v54
	v_cndmask_b32_e32 v54, 0, v47, vcc_lo
.LBB2_424:                              ;   in Loop: Header=BB2_361 Depth=2
	s_or_b32 exec_lo, exec_lo, s23
.LBB2_425:                              ;   in Loop: Header=BB2_361 Depth=2
	s_or_b32 exec_lo, exec_lo, s22
	v_cmp_gt_i16_sdwa s22, v18, v40 src0_sel:BYTE_3 src1_sel:DWORD
	s_mov_b32 s10, 0
	s_and_saveexec_b32 s23, s22
	s_xor_b32 s22, exec_lo, s23
	s_cbranch_execnz .LBB2_547
; %bb.426:                              ;   in Loop: Header=BB2_361 Depth=2
	s_or_saveexec_b32 s22, s22
	v_mov_b32_e32 v47, 0x7f800001
	s_xor_b32 exec_lo, exec_lo, s22
	s_cbranch_execnz .LBB2_550
.LBB2_427:                              ;   in Loop: Header=BB2_361 Depth=2
	s_or_b32 exec_lo, exec_lo, s22
	s_and_saveexec_b32 s22, s10
	s_cbranch_execz .LBB2_429
.LBB2_428:                              ;   in Loop: Header=BB2_361 Depth=2
	v_bfe_u32 v47, v18, 24, 2
	v_bfe_u32 v58, v18, 26, 5
	v_ffbh_u32_e32 v56, v47
	v_cmp_eq_u32_e32 vcc_lo, 0, v58
	v_min_u32_e32 v56, 32, v56
	v_subrev_nc_u32_e32 v57, 29, v56
	v_sub_nc_u32_e32 v56, 30, v56
	v_lshlrev_b32_sdwa v57, v57, v18 dst_sel:DWORD dst_unused:UNUSED_PAD src0_sel:DWORD src1_sel:BYTE_3
	v_cndmask_b32_e32 v56, v58, v56, vcc_lo
	v_and_b32_e32 v18, 0x80000000, v18
	v_and_b32_e32 v57, 3, v57
	v_lshl_add_u32 v56, v56, 23, 0x37800000
	v_cndmask_b32_e32 v47, v47, v57, vcc_lo
	v_lshlrev_b32_e32 v47, 21, v47
	v_or3_b32 v47, v18, v56, v47
.LBB2_429:                              ;   in Loop: Header=BB2_361 Depth=2
	s_or_b32 exec_lo, exec_lo, s22
	v_cmp_gt_i16_sdwa s22, v84, v40 src0_sel:BYTE_3 src1_sel:DWORD
	s_mov_b32 s10, 0
	s_and_saveexec_b32 s23, s22
	s_xor_b32 s22, exec_lo, s23
	s_cbranch_execnz .LBB2_551
; %bb.430:                              ;   in Loop: Header=BB2_361 Depth=2
	s_or_saveexec_b32 s22, s22
	v_mov_b32_e32 v18, 0x7f800001
	s_xor_b32 exec_lo, exec_lo, s22
	s_cbranch_execnz .LBB2_554
.LBB2_431:                              ;   in Loop: Header=BB2_361 Depth=2
	s_or_b32 exec_lo, exec_lo, s22
	s_and_saveexec_b32 s22, s10
	s_cbranch_execz .LBB2_433
.LBB2_432:                              ;   in Loop: Header=BB2_361 Depth=2
	v_bfe_u32 v18, v84, 24, 2
	v_bfe_u32 v58, v84, 26, 5
	v_ffbh_u32_e32 v56, v18
	v_cmp_eq_u32_e32 vcc_lo, 0, v58
	v_min_u32_e32 v56, 32, v56
	v_subrev_nc_u32_e32 v57, 29, v56
	v_sub_nc_u32_e32 v56, 30, v56
	v_lshlrev_b32_sdwa v57, v57, v84 dst_sel:DWORD dst_unused:UNUSED_PAD src0_sel:DWORD src1_sel:BYTE_3
	v_cndmask_b32_e32 v56, v58, v56, vcc_lo
	v_and_b32_e32 v84, 0x80000000, v84
	v_and_b32_e32 v57, 3, v57
	v_lshl_add_u32 v56, v56, 23, 0x37800000
	v_cndmask_b32_e32 v18, v18, v57, vcc_lo
	v_lshlrev_b32_e32 v18, 21, v18
	v_or3_b32 v18, v84, v56, v18
.LBB2_433:                              ;   in Loop: Header=BB2_361 Depth=2
	s_or_b32 exec_lo, exec_lo, s22
	v_mul_f32_e32 v84, v47, v18
	v_and_b32_e32 v18, 0x7f800000, v84
	v_cmp_ne_u32_e32 vcc_lo, 0x7f800000, v18
	v_mov_b32_e32 v18, 0x8000
	s_and_saveexec_b32 s22, vcc_lo
	s_cbranch_execz .LBB2_441
; %bb.434:                              ;   in Loop: Header=BB2_361 Depth=2
	v_mov_b32_e32 v18, 0
	s_mov_b32 s23, exec_lo
	v_cmpx_ne_u32_e32 0, v84
	s_cbranch_execz .LBB2_440
; %bb.435:                              ;   in Loop: Header=BB2_361 Depth=2
	v_bfe_u32 v18, v84, 23, 8
	v_and_b32_e32 v47, 0x7fffff, v84
	v_sub_nc_u32_e32 v56, 0x70, v18
	v_cmp_gt_u32_e32 vcc_lo, 0x71, v18
	v_or_b32_e32 v57, 0x800000, v47
	v_cndmask_b32_e32 v56, 0, v56, vcc_lo
	v_cmp_eq_u32_e32 vcc_lo, 0, v18
	v_add_nc_u32_e32 v18, 0xffffff91, v18
	v_cndmask_b32_e64 v56, v56, 0x6f, vcc_lo
	v_cndmask_b32_e32 v47, v57, v47, vcc_lo
	v_cndmask_b32_e64 v18, v18, 0xffffff92, vcc_lo
	v_lshl_add_u32 v57, 0x200000, v56, -1
	v_lshrrev_b32_e32 v58, v56, v47
	v_lshlrev_b32_e64 v60, v56, 0x100000
	v_add_nc_u32_e32 v56, v56, v18
	v_and_b32_e32 v47, v57, v47
	v_bfe_u32 v59, v58, 21, 1
	v_cmp_eq_u32_e64 s10, v47, v60
	v_add_nc_u32_e32 v57, -1, v59
	v_cndmask_b32_e64 v47, 0, v57, s10
	v_lshrrev_b32_e32 v57, 23, v58
	s_mov_b32 s10, exec_lo
	v_add_nc_u32_e32 v47, v47, v58
	v_xor_b32_e32 v57, 1, v57
	v_and_b32_e32 v18, 0x1fffff, v47
	v_add_nc_u32_e32 v47, v18, v58
                                        ; implicit-def: $vgpr18
	v_cmpx_ne_u32_e64 v56, v57
	s_xor_b32 s10, exec_lo, s10
; %bb.436:                              ;   in Loop: Header=BB2_361 Depth=2
	v_cmp_lt_u32_e32 vcc_lo, 0xffffff, v47
	v_sub_nc_u32_e32 v18, v56, v57
	v_cndmask_b32_e64 v56, 0, 1, vcc_lo
	v_add_co_ci_u32_e64 v18, null, 0, v18, vcc_lo
	v_lshrrev_b32_e32 v47, v56, v47
; %bb.437:                              ;   in Loop: Header=BB2_361 Depth=2
	s_andn2_saveexec_b32 s10, s10
; %bb.438:                              ;   in Loop: Header=BB2_361 Depth=2
	v_bfe_u32 v18, v47, 23, 1
; %bb.439:                              ;   in Loop: Header=BB2_361 Depth=2
	s_or_b32 exec_lo, exec_lo, s10
	v_lshrrev_b32_e32 v47, 21, v47
	v_min_i32_e32 v56, 31, v18
	v_cmp_gt_i32_e32 vcc_lo, 32, v18
	v_and_b32_sdwa v84, v84, v41 dst_sel:DWORD dst_unused:UNUSED_PAD src0_sel:BYTE_3 src1_sel:DWORD
	v_lshlrev_b32_e32 v56, 2, v56
	v_cndmask_b32_e32 v47, 3, v47, vcc_lo
	v_and_b32_e32 v56, 0xfc, v56
	v_and_b32_e32 v57, 3, v47
	v_or_b32_e32 v18, v18, v47
	v_or3_b32 v84, v84, v56, v57
	v_cmp_ne_u32_e32 vcc_lo, 0, v18
	v_lshlrev_b32_e32 v84, 8, v84
	v_cndmask_b32_e32 v18, 0, v84, vcc_lo
.LBB2_440:                              ;   in Loop: Header=BB2_361 Depth=2
	s_or_b32 exec_lo, exec_lo, s23
.LBB2_441:                              ;   in Loop: Header=BB2_361 Depth=2
	s_or_b32 exec_lo, exec_lo, s22
	v_cmp_gt_i16_sdwa s22, v20, v40 src0_sel:BYTE_0 src1_sel:DWORD
	s_mov_b32 s10, 0
	s_and_saveexec_b32 s23, s22
	s_xor_b32 s22, exec_lo, s23
	s_cbranch_execnz .LBB2_555
; %bb.442:                              ;   in Loop: Header=BB2_361 Depth=2
	s_or_saveexec_b32 s22, s22
	v_mov_b32_e32 v84, 0x7f800001
	s_xor_b32 exec_lo, exec_lo, s22
	s_cbranch_execnz .LBB2_558
.LBB2_443:                              ;   in Loop: Header=BB2_361 Depth=2
	s_or_b32 exec_lo, exec_lo, s22
	s_and_saveexec_b32 s22, s10
	s_cbranch_execz .LBB2_445
.LBB2_444:                              ;   in Loop: Header=BB2_361 Depth=2
	v_and_b32_e32 v84, 3, v20
	v_bfe_u32 v57, v20, 2, 5
	v_lshlrev_b32_e32 v58, 24, v20
	v_ffbh_u32_e32 v47, v84
	v_cmp_eq_u32_e32 vcc_lo, 0, v57
	v_min_u32_e32 v47, 32, v47
	v_subrev_nc_u32_e32 v56, 29, v47
	v_sub_nc_u32_e32 v47, 30, v47
	v_lshlrev_b32_e32 v56, v56, v20
	v_cndmask_b32_e32 v47, v57, v47, vcc_lo
	v_and_b32_e32 v56, 3, v56
	v_lshl_add_u32 v47, v47, 23, 0x37800000
	v_cndmask_b32_e32 v84, v84, v56, vcc_lo
	v_and_b32_e32 v56, 0x80000000, v58
	v_lshlrev_b32_e32 v84, 21, v84
	v_or3_b32 v84, v56, v47, v84
.LBB2_445:                              ;   in Loop: Header=BB2_361 Depth=2
	s_or_b32 exec_lo, exec_lo, s22
	v_alignbit_b32 v83, v98, v99, v83
	s_mov_b32 s10, 0
	v_cmp_gt_i16_sdwa s22, v83, v40 src0_sel:BYTE_0 src1_sel:DWORD
	s_and_saveexec_b32 s23, s22
	s_xor_b32 s22, exec_lo, s23
	s_cbranch_execnz .LBB2_559
; %bb.446:                              ;   in Loop: Header=BB2_361 Depth=2
	s_or_saveexec_b32 s22, s22
	v_mov_b32_e32 v98, 0x7f800001
	s_xor_b32 exec_lo, exec_lo, s22
	s_cbranch_execnz .LBB2_562
.LBB2_447:                              ;   in Loop: Header=BB2_361 Depth=2
	s_or_b32 exec_lo, exec_lo, s22
	s_and_saveexec_b32 s22, s10
	s_cbranch_execz .LBB2_449
.LBB2_448:                              ;   in Loop: Header=BB2_361 Depth=2
	v_and_b32_e32 v98, 3, v83
	v_bfe_u32 v56, v83, 2, 5
	v_lshlrev_b32_e32 v57, 24, v83
	v_ffbh_u32_e32 v99, v98
	v_cmp_eq_u32_e32 vcc_lo, 0, v56
	v_min_u32_e32 v99, 32, v99
	v_subrev_nc_u32_e32 v47, 29, v99
	v_sub_nc_u32_e32 v99, 30, v99
	v_lshlrev_b32_e32 v47, v47, v83
	v_cndmask_b32_e32 v99, v56, v99, vcc_lo
	v_and_b32_e32 v47, 3, v47
	v_lshl_add_u32 v99, v99, 23, 0x37800000
	v_cndmask_b32_e32 v98, v98, v47, vcc_lo
	v_and_b32_e32 v47, 0x80000000, v57
	v_lshlrev_b32_e32 v98, 21, v98
	v_or3_b32 v98, v47, v99, v98
.LBB2_449:                              ;   in Loop: Header=BB2_361 Depth=2
	s_or_b32 exec_lo, exec_lo, s22
	v_mul_f32_e32 v98, v84, v98
	v_and_b32_e32 v84, 0x7f800000, v98
	v_cmp_ne_u32_e32 vcc_lo, 0x7f800000, v84
	v_mov_b32_e32 v84, 0x80
	s_and_saveexec_b32 s22, vcc_lo
	s_cbranch_execz .LBB2_457
; %bb.450:                              ;   in Loop: Header=BB2_361 Depth=2
	v_mov_b32_e32 v84, 0
	s_mov_b32 s23, exec_lo
	v_cmpx_ne_u32_e32 0, v98
	s_cbranch_execz .LBB2_456
; %bb.451:                              ;   in Loop: Header=BB2_361 Depth=2
	v_bfe_u32 v84, v98, 23, 8
	v_and_b32_e32 v99, 0x7fffff, v98
	v_sub_nc_u32_e32 v47, 0x70, v84
	v_cmp_gt_u32_e32 vcc_lo, 0x71, v84
	v_or_b32_e32 v56, 0x800000, v99
	v_cndmask_b32_e32 v47, 0, v47, vcc_lo
	v_cmp_eq_u32_e32 vcc_lo, 0, v84
	v_add_nc_u32_e32 v84, 0xffffff91, v84
	v_cndmask_b32_e64 v47, v47, 0x6f, vcc_lo
	v_cndmask_b32_e32 v99, v56, v99, vcc_lo
	v_cndmask_b32_e64 v84, v84, 0xffffff92, vcc_lo
	v_lshl_add_u32 v56, 0x200000, v47, -1
	v_lshrrev_b32_e32 v57, v47, v99
	v_lshlrev_b32_e64 v59, v47, 0x100000
	v_add_nc_u32_e32 v47, v47, v84
	v_and_b32_e32 v99, v56, v99
	v_bfe_u32 v58, v57, 21, 1
	v_cmp_eq_u32_e64 s10, v99, v59
	v_add_nc_u32_e32 v56, -1, v58
	v_cndmask_b32_e64 v99, 0, v56, s10
	v_lshrrev_b32_e32 v56, 23, v57
	s_mov_b32 s10, exec_lo
	v_add_nc_u32_e32 v99, v99, v57
	v_xor_b32_e32 v56, 1, v56
	v_and_b32_e32 v84, 0x1fffff, v99
	v_add_nc_u32_e32 v99, v84, v57
                                        ; implicit-def: $vgpr84
	v_cmpx_ne_u32_e64 v47, v56
	s_xor_b32 s10, exec_lo, s10
; %bb.452:                              ;   in Loop: Header=BB2_361 Depth=2
	v_cmp_lt_u32_e32 vcc_lo, 0xffffff, v99
	v_sub_nc_u32_e32 v84, v47, v56
	v_cndmask_b32_e64 v47, 0, 1, vcc_lo
	v_add_co_ci_u32_e64 v84, null, 0, v84, vcc_lo
	v_lshrrev_b32_e32 v99, v47, v99
; %bb.453:                              ;   in Loop: Header=BB2_361 Depth=2
	s_andn2_saveexec_b32 s10, s10
; %bb.454:                              ;   in Loop: Header=BB2_361 Depth=2
	v_bfe_u32 v84, v99, 23, 1
; %bb.455:                              ;   in Loop: Header=BB2_361 Depth=2
	s_or_b32 exec_lo, exec_lo, s10
	v_lshrrev_b32_e32 v99, 21, v99
	v_min_i32_e32 v47, 31, v84
	v_cmp_gt_i32_e32 vcc_lo, 32, v84
	v_and_b32_sdwa v98, v98, v41 dst_sel:DWORD dst_unused:UNUSED_PAD src0_sel:BYTE_3 src1_sel:DWORD
	v_lshlrev_b32_e32 v47, 2, v47
	v_cndmask_b32_e32 v99, 3, v99, vcc_lo
	v_and_b32_e32 v47, 0xfc, v47
	v_and_b32_e32 v56, 3, v99
	v_or_b32_e32 v84, v84, v99
	v_or3_b32 v98, v47, v98, v56
	v_cmp_ne_u32_e32 vcc_lo, 0, v84
	v_cndmask_b32_e32 v84, 0, v98, vcc_lo
.LBB2_456:                              ;   in Loop: Header=BB2_361 Depth=2
	s_or_b32 exec_lo, exec_lo, s23
.LBB2_457:                              ;   in Loop: Header=BB2_361 Depth=2
	s_or_b32 exec_lo, exec_lo, s22
	v_cmp_gt_i16_sdwa s22, v20, v40 src0_sel:BYTE_1 src1_sel:DWORD
	s_mov_b32 s10, 0
	s_and_saveexec_b32 s23, s22
	s_xor_b32 s22, exec_lo, s23
	s_cbranch_execnz .LBB2_563
; %bb.458:                              ;   in Loop: Header=BB2_361 Depth=2
	s_or_saveexec_b32 s22, s22
	v_mov_b32_e32 v98, 0x7f800001
	s_xor_b32 exec_lo, exec_lo, s22
	s_cbranch_execnz .LBB2_566
.LBB2_459:                              ;   in Loop: Header=BB2_361 Depth=2
	s_or_b32 exec_lo, exec_lo, s22
	s_and_saveexec_b32 s22, s10
	s_cbranch_execz .LBB2_461
.LBB2_460:                              ;   in Loop: Header=BB2_361 Depth=2
	v_and_b32_sdwa v98, v42, v20 dst_sel:DWORD dst_unused:UNUSED_PAD src0_sel:DWORD src1_sel:BYTE_1
	v_and_b32_e32 v99, 3, v98
	v_bfe_u32 v57, v98, 2, 5
	v_ffbh_u32_e32 v47, v99
	v_cmp_eq_u32_e32 vcc_lo, 0, v57
	v_min_u32_e32 v47, 32, v47
	v_subrev_nc_u32_e32 v56, 29, v47
	v_sub_nc_u32_e32 v47, 30, v47
	v_lshlrev_b32_e32 v98, v56, v98
	v_lshlrev_b32_sdwa v56, v43, v20 dst_sel:DWORD dst_unused:UNUSED_PAD src0_sel:DWORD src1_sel:BYTE_1
	v_cndmask_b32_e32 v47, v57, v47, vcc_lo
	v_and_b32_e32 v98, 3, v98
	v_lshl_add_u32 v47, v47, 23, 0x37800000
	v_cndmask_b32_e32 v98, v99, v98, vcc_lo
	v_and_b32_e32 v99, 0x80000000, v56
	v_lshlrev_b32_e32 v98, 21, v98
	v_or3_b32 v98, v99, v47, v98
.LBB2_461:                              ;   in Loop: Header=BB2_361 Depth=2
	s_or_b32 exec_lo, exec_lo, s22
	v_cmp_gt_i16_sdwa s22, v83, v40 src0_sel:BYTE_1 src1_sel:DWORD
	s_mov_b32 s10, 0
	s_and_saveexec_b32 s23, s22
	s_xor_b32 s22, exec_lo, s23
	s_cbranch_execnz .LBB2_567
; %bb.462:                              ;   in Loop: Header=BB2_361 Depth=2
	s_or_saveexec_b32 s22, s22
	v_mov_b32_e32 v99, 0x7f800001
	s_xor_b32 exec_lo, exec_lo, s22
	s_cbranch_execnz .LBB2_570
.LBB2_463:                              ;   in Loop: Header=BB2_361 Depth=2
	s_or_b32 exec_lo, exec_lo, s22
	s_and_saveexec_b32 s22, s10
	s_cbranch_execz .LBB2_465
.LBB2_464:                              ;   in Loop: Header=BB2_361 Depth=2
	v_and_b32_sdwa v99, v42, v83 dst_sel:DWORD dst_unused:UNUSED_PAD src0_sel:DWORD src1_sel:BYTE_1
	v_and_b32_e32 v47, 3, v99
	v_bfe_u32 v58, v99, 2, 5
	v_ffbh_u32_e32 v56, v47
	v_cmp_eq_u32_e32 vcc_lo, 0, v58
	v_min_u32_e32 v56, 32, v56
	v_subrev_nc_u32_e32 v57, 29, v56
	v_sub_nc_u32_e32 v56, 30, v56
	v_lshlrev_b32_e32 v99, v57, v99
	v_lshlrev_b32_sdwa v57, v43, v83 dst_sel:DWORD dst_unused:UNUSED_PAD src0_sel:DWORD src1_sel:BYTE_1
	v_cndmask_b32_e32 v56, v58, v56, vcc_lo
	v_and_b32_e32 v99, 3, v99
	v_lshl_add_u32 v56, v56, 23, 0x37800000
	v_cndmask_b32_e32 v99, v47, v99, vcc_lo
	v_and_b32_e32 v47, 0x80000000, v57
	v_lshlrev_b32_e32 v99, 21, v99
	v_or3_b32 v99, v47, v56, v99
.LBB2_465:                              ;   in Loop: Header=BB2_361 Depth=2
	s_or_b32 exec_lo, exec_lo, s22
	v_mul_f32_e32 v99, v98, v99
	v_and_b32_e32 v98, 0x7f800000, v99
	v_cmp_ne_u32_e32 vcc_lo, 0x7f800000, v98
	v_mov_b32_e32 v98, 0x8000
	s_and_saveexec_b32 s22, vcc_lo
	s_cbranch_execz .LBB2_473
; %bb.466:                              ;   in Loop: Header=BB2_361 Depth=2
	v_mov_b32_e32 v98, 0
	s_mov_b32 s23, exec_lo
	v_cmpx_ne_u32_e32 0, v99
	s_cbranch_execz .LBB2_472
; %bb.467:                              ;   in Loop: Header=BB2_361 Depth=2
	v_bfe_u32 v98, v99, 23, 8
	v_and_b32_e32 v47, 0x7fffff, v99
	v_sub_nc_u32_e32 v56, 0x70, v98
	v_cmp_gt_u32_e32 vcc_lo, 0x71, v98
	v_or_b32_e32 v57, 0x800000, v47
	v_cndmask_b32_e32 v56, 0, v56, vcc_lo
	v_cmp_eq_u32_e32 vcc_lo, 0, v98
	v_add_nc_u32_e32 v98, 0xffffff91, v98
	v_cndmask_b32_e64 v56, v56, 0x6f, vcc_lo
	v_cndmask_b32_e32 v47, v57, v47, vcc_lo
	v_cndmask_b32_e64 v98, v98, 0xffffff92, vcc_lo
	v_lshl_add_u32 v57, 0x200000, v56, -1
	v_lshrrev_b32_e32 v58, v56, v47
	v_lshlrev_b32_e64 v60, v56, 0x100000
	v_add_nc_u32_e32 v56, v56, v98
	v_and_b32_e32 v47, v57, v47
	v_bfe_u32 v59, v58, 21, 1
	v_cmp_eq_u32_e64 s10, v47, v60
	v_add_nc_u32_e32 v57, -1, v59
	v_cndmask_b32_e64 v47, 0, v57, s10
	v_lshrrev_b32_e32 v57, 23, v58
	s_mov_b32 s10, exec_lo
	v_add_nc_u32_e32 v47, v47, v58
	v_xor_b32_e32 v57, 1, v57
	v_and_b32_e32 v98, 0x1fffff, v47
	v_add_nc_u32_e32 v47, v98, v58
                                        ; implicit-def: $vgpr98
	v_cmpx_ne_u32_e64 v56, v57
	s_xor_b32 s10, exec_lo, s10
; %bb.468:                              ;   in Loop: Header=BB2_361 Depth=2
	v_cmp_lt_u32_e32 vcc_lo, 0xffffff, v47
	v_sub_nc_u32_e32 v98, v56, v57
	v_cndmask_b32_e64 v56, 0, 1, vcc_lo
	v_add_co_ci_u32_e64 v98, null, 0, v98, vcc_lo
	v_lshrrev_b32_e32 v47, v56, v47
; %bb.469:                              ;   in Loop: Header=BB2_361 Depth=2
	s_andn2_saveexec_b32 s10, s10
; %bb.470:                              ;   in Loop: Header=BB2_361 Depth=2
	v_bfe_u32 v98, v47, 23, 1
; %bb.471:                              ;   in Loop: Header=BB2_361 Depth=2
	s_or_b32 exec_lo, exec_lo, s10
	v_lshrrev_b32_e32 v47, 21, v47
	v_min_i32_e32 v56, 31, v98
	v_cmp_gt_i32_e32 vcc_lo, 32, v98
	v_and_b32_sdwa v99, v99, v41 dst_sel:DWORD dst_unused:UNUSED_PAD src0_sel:BYTE_3 src1_sel:DWORD
	v_lshlrev_b32_e32 v56, 2, v56
	v_cndmask_b32_e32 v47, 3, v47, vcc_lo
	v_and_b32_e32 v56, 0xfc, v56
	v_and_b32_e32 v57, 3, v47
	v_or_b32_e32 v98, v98, v47
	v_or3_b32 v99, v99, v56, v57
	v_cmp_ne_u32_e32 vcc_lo, 0, v98
	v_lshlrev_b32_e32 v99, 8, v99
	v_cndmask_b32_e32 v98, 0, v99, vcc_lo
.LBB2_472:                              ;   in Loop: Header=BB2_361 Depth=2
	s_or_b32 exec_lo, exec_lo, s23
.LBB2_473:                              ;   in Loop: Header=BB2_361 Depth=2
	s_or_b32 exec_lo, exec_lo, s22
	v_and_b32_sdwa v47, v20, v44 dst_sel:DWORD dst_unused:UNUSED_PAD src0_sel:WORD_1 src1_sel:DWORD
	s_mov_b32 s10, 0
	s_mov_b32 s22, exec_lo
	v_cmpx_lt_i16_e32 0x7f, v47
	s_xor_b32 s22, exec_lo, s22
	s_cbranch_execnz .LBB2_571
; %bb.474:                              ;   in Loop: Header=BB2_361 Depth=2
	s_or_saveexec_b32 s22, s22
	v_mov_b32_e32 v99, 0x7f800001
	s_xor_b32 exec_lo, exec_lo, s22
	s_cbranch_execnz .LBB2_574
.LBB2_475:                              ;   in Loop: Header=BB2_361 Depth=2
	s_or_b32 exec_lo, exec_lo, s22
	s_and_saveexec_b32 s22, s10
	s_cbranch_execz .LBB2_477
.LBB2_476:                              ;   in Loop: Header=BB2_361 Depth=2
	v_bfe_u32 v99, v20, 16, 2
	v_bfe_u32 v57, v20, 18, 5
	v_lshlrev_b32_e32 v58, 8, v20
	v_ffbh_u32_e32 v47, v99
	v_cmp_eq_u32_e32 vcc_lo, 0, v57
	v_min_u32_e32 v47, 32, v47
	v_subrev_nc_u32_e32 v56, 29, v47
	v_sub_nc_u32_e32 v47, 30, v47
	v_lshlrev_b32_sdwa v56, v56, v20 dst_sel:DWORD dst_unused:UNUSED_PAD src0_sel:DWORD src1_sel:WORD_1
	v_cndmask_b32_e32 v47, v57, v47, vcc_lo
	v_and_b32_e32 v56, 3, v56
	v_lshl_add_u32 v47, v47, 23, 0x37800000
	v_cndmask_b32_e32 v99, v99, v56, vcc_lo
	v_and_b32_e32 v56, 0x80000000, v58
	v_lshlrev_b32_e32 v99, 21, v99
	v_or3_b32 v99, v56, v47, v99
.LBB2_477:                              ;   in Loop: Header=BB2_361 Depth=2
	s_or_b32 exec_lo, exec_lo, s22
	v_and_b32_sdwa v56, v83, v44 dst_sel:DWORD dst_unused:UNUSED_PAD src0_sel:WORD_1 src1_sel:DWORD
	s_mov_b32 s10, 0
	s_mov_b32 s22, exec_lo
	v_cmpx_lt_i16_e32 0x7f, v56
	s_xor_b32 s22, exec_lo, s22
	s_cbranch_execnz .LBB2_575
; %bb.478:                              ;   in Loop: Header=BB2_361 Depth=2
	s_or_saveexec_b32 s22, s22
	v_mov_b32_e32 v47, 0x7f800001
	s_xor_b32 exec_lo, exec_lo, s22
	s_cbranch_execnz .LBB2_578
.LBB2_479:                              ;   in Loop: Header=BB2_361 Depth=2
	s_or_b32 exec_lo, exec_lo, s22
	s_and_saveexec_b32 s22, s10
	s_cbranch_execz .LBB2_481
.LBB2_480:                              ;   in Loop: Header=BB2_361 Depth=2
	v_bfe_u32 v47, v83, 16, 2
	v_bfe_u32 v58, v83, 18, 5
	v_lshlrev_b32_e32 v59, 8, v83
	v_ffbh_u32_e32 v56, v47
	v_cmp_eq_u32_e32 vcc_lo, 0, v58
	v_min_u32_e32 v56, 32, v56
	v_subrev_nc_u32_e32 v57, 29, v56
	v_sub_nc_u32_e32 v56, 30, v56
	v_lshlrev_b32_sdwa v57, v57, v83 dst_sel:DWORD dst_unused:UNUSED_PAD src0_sel:DWORD src1_sel:WORD_1
	v_cndmask_b32_e32 v56, v58, v56, vcc_lo
	v_and_b32_e32 v57, 3, v57
	v_lshl_add_u32 v56, v56, 23, 0x37800000
	v_cndmask_b32_e32 v47, v47, v57, vcc_lo
	v_and_b32_e32 v57, 0x80000000, v59
	v_lshlrev_b32_e32 v47, 21, v47
	v_or3_b32 v47, v57, v56, v47
.LBB2_481:                              ;   in Loop: Header=BB2_361 Depth=2
	s_or_b32 exec_lo, exec_lo, s22
	v_mul_f32_e32 v47, v99, v47
	v_and_b32_e32 v99, 0x7f800000, v47
	v_cmp_ne_u32_e32 vcc_lo, 0x7f800000, v99
	v_mov_b32_e32 v99, 0x80
	s_and_saveexec_b32 s22, vcc_lo
	s_cbranch_execz .LBB2_489
; %bb.482:                              ;   in Loop: Header=BB2_361 Depth=2
	v_mov_b32_e32 v99, 0
	s_mov_b32 s23, exec_lo
	v_cmpx_ne_u32_e32 0, v47
	s_cbranch_execz .LBB2_488
; %bb.483:                              ;   in Loop: Header=BB2_361 Depth=2
	v_bfe_u32 v99, v47, 23, 8
	v_and_b32_e32 v56, 0x7fffff, v47
	v_sub_nc_u32_e32 v57, 0x70, v99
	v_cmp_gt_u32_e32 vcc_lo, 0x71, v99
	v_or_b32_e32 v58, 0x800000, v56
	v_cndmask_b32_e32 v57, 0, v57, vcc_lo
	v_cmp_eq_u32_e32 vcc_lo, 0, v99
	v_add_nc_u32_e32 v99, 0xffffff91, v99
	v_cndmask_b32_e64 v57, v57, 0x6f, vcc_lo
	v_cndmask_b32_e32 v56, v58, v56, vcc_lo
	v_cndmask_b32_e64 v99, v99, 0xffffff92, vcc_lo
	v_lshl_add_u32 v58, 0x200000, v57, -1
	v_lshrrev_b32_e32 v59, v57, v56
	v_lshlrev_b32_e64 v61, v57, 0x100000
	v_add_nc_u32_e32 v57, v57, v99
	v_and_b32_e32 v56, v58, v56
	v_bfe_u32 v60, v59, 21, 1
	v_cmp_eq_u32_e64 s10, v56, v61
	v_add_nc_u32_e32 v58, -1, v60
	v_cndmask_b32_e64 v56, 0, v58, s10
	v_lshrrev_b32_e32 v58, 23, v59
	s_mov_b32 s10, exec_lo
	v_add_nc_u32_e32 v56, v56, v59
	v_xor_b32_e32 v58, 1, v58
	v_and_b32_e32 v99, 0x1fffff, v56
	v_add_nc_u32_e32 v56, v99, v59
                                        ; implicit-def: $vgpr99
	v_cmpx_ne_u32_e64 v57, v58
	s_xor_b32 s10, exec_lo, s10
; %bb.484:                              ;   in Loop: Header=BB2_361 Depth=2
	v_cmp_lt_u32_e32 vcc_lo, 0xffffff, v56
	v_sub_nc_u32_e32 v99, v57, v58
	v_cndmask_b32_e64 v57, 0, 1, vcc_lo
	v_add_co_ci_u32_e64 v99, null, 0, v99, vcc_lo
	v_lshrrev_b32_e32 v56, v57, v56
; %bb.485:                              ;   in Loop: Header=BB2_361 Depth=2
	s_andn2_saveexec_b32 s10, s10
; %bb.486:                              ;   in Loop: Header=BB2_361 Depth=2
	v_bfe_u32 v99, v56, 23, 1
; %bb.487:                              ;   in Loop: Header=BB2_361 Depth=2
	s_or_b32 exec_lo, exec_lo, s10
	v_lshrrev_b32_e32 v56, 21, v56
	v_min_i32_e32 v57, 31, v99
	v_cmp_gt_i32_e32 vcc_lo, 32, v99
	v_and_b32_sdwa v47, v47, v41 dst_sel:DWORD dst_unused:UNUSED_PAD src0_sel:BYTE_3 src1_sel:DWORD
	v_lshlrev_b32_e32 v57, 2, v57
	v_cndmask_b32_e32 v56, 3, v56, vcc_lo
	v_and_b32_e32 v57, 0xfc, v57
	v_and_b32_e32 v58, 3, v56
	v_or_b32_e32 v99, v99, v56
	v_or3_b32 v47, v57, v47, v58
	v_cmp_ne_u32_e32 vcc_lo, 0, v99
	v_cndmask_b32_e32 v99, 0, v47, vcc_lo
.LBB2_488:                              ;   in Loop: Header=BB2_361 Depth=2
	s_or_b32 exec_lo, exec_lo, s23
.LBB2_489:                              ;   in Loop: Header=BB2_361 Depth=2
	s_or_b32 exec_lo, exec_lo, s22
	v_cmp_gt_i16_sdwa s22, v20, v40 src0_sel:BYTE_3 src1_sel:DWORD
	s_mov_b32 s10, 0
	s_and_saveexec_b32 s23, s22
	s_xor_b32 s22, exec_lo, s23
	s_cbranch_execnz .LBB2_579
; %bb.490:                              ;   in Loop: Header=BB2_361 Depth=2
	s_or_saveexec_b32 s22, s22
	v_mov_b32_e32 v47, 0x7f800001
	s_xor_b32 exec_lo, exec_lo, s22
	s_cbranch_execnz .LBB2_582
.LBB2_491:                              ;   in Loop: Header=BB2_361 Depth=2
	s_or_b32 exec_lo, exec_lo, s22
	s_and_saveexec_b32 s22, s10
	s_cbranch_execz .LBB2_493
.LBB2_492:                              ;   in Loop: Header=BB2_361 Depth=2
	v_bfe_u32 v47, v20, 24, 2
	v_bfe_u32 v58, v20, 26, 5
	v_ffbh_u32_e32 v56, v47
	v_cmp_eq_u32_e32 vcc_lo, 0, v58
	v_min_u32_e32 v56, 32, v56
	v_subrev_nc_u32_e32 v57, 29, v56
	v_sub_nc_u32_e32 v56, 30, v56
	v_lshlrev_b32_sdwa v57, v57, v20 dst_sel:DWORD dst_unused:UNUSED_PAD src0_sel:DWORD src1_sel:BYTE_3
	v_cndmask_b32_e32 v56, v58, v56, vcc_lo
	v_and_b32_e32 v20, 0x80000000, v20
	v_and_b32_e32 v57, 3, v57
	v_lshl_add_u32 v56, v56, 23, 0x37800000
	v_cndmask_b32_e32 v47, v47, v57, vcc_lo
	v_lshlrev_b32_e32 v47, 21, v47
	v_or3_b32 v47, v20, v56, v47
.LBB2_493:                              ;   in Loop: Header=BB2_361 Depth=2
	s_or_b32 exec_lo, exec_lo, s22
	v_cmp_gt_i16_sdwa s22, v83, v40 src0_sel:BYTE_3 src1_sel:DWORD
	s_mov_b32 s10, 0
	s_and_saveexec_b32 s23, s22
	s_xor_b32 s22, exec_lo, s23
	s_cbranch_execnz .LBB2_583
; %bb.494:                              ;   in Loop: Header=BB2_361 Depth=2
	s_or_saveexec_b32 s22, s22
	v_mov_b32_e32 v20, 0x7f800001
	s_xor_b32 exec_lo, exec_lo, s22
	s_cbranch_execnz .LBB2_586
.LBB2_495:                              ;   in Loop: Header=BB2_361 Depth=2
	s_or_b32 exec_lo, exec_lo, s22
	s_and_saveexec_b32 s22, s10
	s_cbranch_execz .LBB2_497
.LBB2_496:                              ;   in Loop: Header=BB2_361 Depth=2
	v_bfe_u32 v20, v83, 24, 2
	v_bfe_u32 v58, v83, 26, 5
	v_ffbh_u32_e32 v56, v20
	v_cmp_eq_u32_e32 vcc_lo, 0, v58
	v_min_u32_e32 v56, 32, v56
	v_subrev_nc_u32_e32 v57, 29, v56
	v_sub_nc_u32_e32 v56, 30, v56
	v_lshlrev_b32_sdwa v57, v57, v83 dst_sel:DWORD dst_unused:UNUSED_PAD src0_sel:DWORD src1_sel:BYTE_3
	v_cndmask_b32_e32 v56, v58, v56, vcc_lo
	v_and_b32_e32 v83, 0x80000000, v83
	v_and_b32_e32 v57, 3, v57
	v_lshl_add_u32 v56, v56, 23, 0x37800000
	v_cndmask_b32_e32 v20, v20, v57, vcc_lo
	v_lshlrev_b32_e32 v20, 21, v20
	v_or3_b32 v20, v83, v56, v20
.LBB2_497:                              ;   in Loop: Header=BB2_361 Depth=2
	s_or_b32 exec_lo, exec_lo, s22
	v_mul_f32_e32 v20, v47, v20
	v_and_b32_e32 v83, 0x7f800000, v20
	v_cmp_ne_u32_e32 vcc_lo, 0x7f800000, v83
	v_mov_b32_e32 v83, 0x8000
	s_and_saveexec_b32 s22, vcc_lo
	s_cbranch_execz .LBB2_505
; %bb.498:                              ;   in Loop: Header=BB2_361 Depth=2
	v_mov_b32_e32 v83, 0
	s_mov_b32 s23, exec_lo
	v_cmpx_ne_u32_e32 0, v20
	s_cbranch_execz .LBB2_504
; %bb.499:                              ;   in Loop: Header=BB2_361 Depth=2
	v_bfe_u32 v83, v20, 23, 8
	v_and_b32_e32 v47, 0x7fffff, v20
	v_sub_nc_u32_e32 v56, 0x70, v83
	v_cmp_gt_u32_e32 vcc_lo, 0x71, v83
	v_or_b32_e32 v57, 0x800000, v47
	v_cndmask_b32_e32 v56, 0, v56, vcc_lo
	v_cmp_eq_u32_e32 vcc_lo, 0, v83
	v_add_nc_u32_e32 v83, 0xffffff91, v83
	v_cndmask_b32_e64 v56, v56, 0x6f, vcc_lo
	v_cndmask_b32_e32 v47, v57, v47, vcc_lo
	v_cndmask_b32_e64 v83, v83, 0xffffff92, vcc_lo
	v_lshl_add_u32 v57, 0x200000, v56, -1
	v_lshrrev_b32_e32 v58, v56, v47
	v_lshlrev_b32_e64 v60, v56, 0x100000
	v_add_nc_u32_e32 v56, v56, v83
	v_and_b32_e32 v47, v57, v47
	v_bfe_u32 v59, v58, 21, 1
	v_cmp_eq_u32_e64 s10, v47, v60
	v_add_nc_u32_e32 v57, -1, v59
	v_cndmask_b32_e64 v47, 0, v57, s10
	v_lshrrev_b32_e32 v57, 23, v58
	s_mov_b32 s10, exec_lo
	v_add_nc_u32_e32 v47, v47, v58
	v_xor_b32_e32 v57, 1, v57
	v_and_b32_e32 v83, 0x1fffff, v47
	v_add_nc_u32_e32 v47, v83, v58
                                        ; implicit-def: $vgpr83
	v_cmpx_ne_u32_e64 v56, v57
	s_xor_b32 s10, exec_lo, s10
; %bb.500:                              ;   in Loop: Header=BB2_361 Depth=2
	v_cmp_lt_u32_e32 vcc_lo, 0xffffff, v47
	v_sub_nc_u32_e32 v83, v56, v57
	v_cndmask_b32_e64 v56, 0, 1, vcc_lo
	v_add_co_ci_u32_e64 v83, null, 0, v83, vcc_lo
	v_lshrrev_b32_e32 v47, v56, v47
; %bb.501:                              ;   in Loop: Header=BB2_361 Depth=2
	s_andn2_saveexec_b32 s10, s10
; %bb.502:                              ;   in Loop: Header=BB2_361 Depth=2
	v_bfe_u32 v83, v47, 23, 1
; %bb.503:                              ;   in Loop: Header=BB2_361 Depth=2
	s_or_b32 exec_lo, exec_lo, s10
	v_lshrrev_b32_e32 v47, 21, v47
	v_min_i32_e32 v56, 31, v83
	v_cmp_gt_i32_e32 vcc_lo, 32, v83
	v_and_b32_sdwa v20, v20, v41 dst_sel:DWORD dst_unused:UNUSED_PAD src0_sel:BYTE_3 src1_sel:DWORD
	v_lshlrev_b32_e32 v56, 2, v56
	v_cndmask_b32_e32 v47, 3, v47, vcc_lo
	v_and_b32_e32 v56, 0xfc, v56
	v_and_b32_e32 v57, 3, v47
	v_or_b32_e32 v83, v83, v47
	v_or3_b32 v20, v20, v56, v57
	v_cmp_ne_u32_e32 vcc_lo, 0, v83
	v_lshlrev_b32_e32 v20, 8, v20
	v_cndmask_b32_e32 v83, 0, v20, vcc_lo
.LBB2_504:                              ;   in Loop: Header=BB2_361 Depth=2
	s_or_b32 exec_lo, exec_lo, s23
.LBB2_505:                              ;   in Loop: Header=BB2_361 Depth=2
	s_or_b32 exec_lo, exec_lo, s22
	v_or_b32_e32 v21, v21, v19
	v_or_b32_e32 v18, v18, v54
	;; [unrolled: 1-line block ×4, first 2 shown]
	v_cmp_lt_u32_e32 vcc_lo, 7, v46
	s_mov_b32 s10, -1
	v_lshl_or_b32 v18, v18, 16, v21
	v_lshl_or_b32 v19, v19, 16, v20
	s_cmp_lg_u32 vcc_lo, exec_lo
	s_cbranch_scc0 .LBB2_521
; %bb.506:                              ;   in Loop: Header=BB2_361 Depth=2
	s_mov_b32 s22, exec_lo
	flat_store_byte v[80:81], v21
	v_cmpx_ne_u32_e32 1, v46
	s_cbranch_execz .LBB2_508
; %bb.507:                              ;   in Loop: Header=BB2_361 Depth=2
	v_lshrrev_b32_e32 v21, 8, v21
	flat_store_byte v[80:81], v21 offset:1
.LBB2_508:                              ;   in Loop: Header=BB2_361 Depth=2
	s_or_b32 exec_lo, exec_lo, s22
	s_mov_b32 s22, exec_lo
	v_cmpx_lt_u32_e32 2, v46
	s_cbranch_execz .LBB2_510
; %bb.509:                              ;   in Loop: Header=BB2_361 Depth=2
	flat_store_byte_d16_hi v[80:81], v18 offset:2
.LBB2_510:                              ;   in Loop: Header=BB2_361 Depth=2
	s_or_b32 exec_lo, exec_lo, s22
	s_mov_b32 s22, exec_lo
	v_cmpx_lt_u32_e32 3, v46
	s_cbranch_execz .LBB2_512
; %bb.511:                              ;   in Loop: Header=BB2_361 Depth=2
	v_lshrrev_b32_e32 v21, 24, v18
	flat_store_byte v[80:81], v21 offset:3
.LBB2_512:                              ;   in Loop: Header=BB2_361 Depth=2
	s_or_b32 exec_lo, exec_lo, s22
	s_mov_b32 s22, exec_lo
	v_cmpx_lt_u32_e32 4, v46
	s_cbranch_execz .LBB2_514
; %bb.513:                              ;   in Loop: Header=BB2_361 Depth=2
	flat_store_byte v[80:81], v20 offset:4
.LBB2_514:                              ;   in Loop: Header=BB2_361 Depth=2
	s_or_b32 exec_lo, exec_lo, s22
	s_mov_b32 s22, exec_lo
	v_cmpx_lt_u32_e32 5, v46
	s_cbranch_execz .LBB2_516
; %bb.515:                              ;   in Loop: Header=BB2_361 Depth=2
	v_lshrrev_b32_e32 v20, 8, v20
	flat_store_byte v[80:81], v20 offset:5
.LBB2_516:                              ;   in Loop: Header=BB2_361 Depth=2
	s_or_b32 exec_lo, exec_lo, s22
	s_mov_b32 s22, exec_lo
	v_cmpx_lt_u32_e32 6, v46
	s_cbranch_execz .LBB2_518
; %bb.517:                              ;   in Loop: Header=BB2_361 Depth=2
	flat_store_byte_d16_hi v[80:81], v19 offset:6
.LBB2_518:                              ;   in Loop: Header=BB2_361 Depth=2
	s_or_b32 exec_lo, exec_lo, s22
	s_and_saveexec_b32 s10, vcc_lo
	s_cbranch_execz .LBB2_520
; %bb.519:                              ;   in Loop: Header=BB2_361 Depth=2
	v_lshrrev_b32_e32 v20, 24, v19
	flat_store_byte v[80:81], v20 offset:7
.LBB2_520:                              ;   in Loop: Header=BB2_361 Depth=2
	s_or_b32 exec_lo, exec_lo, s10
	s_mov_b32 s10, 0
.LBB2_521:                              ;   in Loop: Header=BB2_361 Depth=2
	s_and_b32 vcc_lo, exec_lo, s10
	s_cbranch_vccz .LBB2_360
; %bb.522:                              ;   in Loop: Header=BB2_361 Depth=2
	global_store_dwordx2 v[80:81], v[18:19], off
	s_branch .LBB2_360
.LBB2_523:                              ;   in Loop: Header=BB2_361 Depth=2
	v_cmp_eq_u16_sdwa s24, v18, v41 src0_sel:BYTE_0 src1_sel:DWORD
	s_mov_b32 s10, -1
	s_and_saveexec_b32 s23, s24
; %bb.524:                              ;   in Loop: Header=BB2_361 Depth=2
	s_xor_b32 s10, exec_lo, -1
; %bb.525:                              ;   in Loop: Header=BB2_361 Depth=2
	s_or_b32 exec_lo, exec_lo, s23
	s_and_b32 s10, s10, exec_lo
	s_or_saveexec_b32 s22, s22
	v_mov_b32_e32 v19, 0x7f800001
	s_xor_b32 exec_lo, exec_lo, s22
	s_cbranch_execz .LBB2_379
.LBB2_526:                              ;   in Loop: Header=BB2_361 Depth=2
	v_cmp_ne_u16_sdwa s23, v18, v55 src0_sel:BYTE_0 src1_sel:DWORD
	v_mov_b32_e32 v19, 0
	s_andn2_b32 s10, s10, exec_lo
	s_and_b32 s23, s23, exec_lo
	s_or_b32 s10, s10, s23
	s_or_b32 exec_lo, exec_lo, s22
	s_and_saveexec_b32 s22, s10
	s_cbranch_execnz .LBB2_380
	s_branch .LBB2_381
.LBB2_527:                              ;   in Loop: Header=BB2_361 Depth=2
	v_cmp_eq_u16_sdwa s24, v84, v41 src0_sel:BYTE_0 src1_sel:DWORD
	s_mov_b32 s10, -1
	s_and_saveexec_b32 s23, s24
; %bb.528:                              ;   in Loop: Header=BB2_361 Depth=2
	s_xor_b32 s10, exec_lo, -1
; %bb.529:                              ;   in Loop: Header=BB2_361 Depth=2
	s_or_b32 exec_lo, exec_lo, s23
	s_and_b32 s10, s10, exec_lo
	s_or_saveexec_b32 s22, s22
	v_mov_b32_e32 v21, 0x7f800001
	s_xor_b32 exec_lo, exec_lo, s22
	s_cbranch_execz .LBB2_383
.LBB2_530:                              ;   in Loop: Header=BB2_361 Depth=2
	v_cmp_ne_u16_sdwa s23, v84, v55 src0_sel:BYTE_0 src1_sel:DWORD
	v_mov_b32_e32 v21, 0
	s_andn2_b32 s10, s10, exec_lo
	s_and_b32 s23, s23, exec_lo
	s_or_b32 s10, s10, s23
	s_or_b32 exec_lo, exec_lo, s22
	s_and_saveexec_b32 s22, s10
	s_cbranch_execnz .LBB2_384
	s_branch .LBB2_385
.LBB2_531:                              ;   in Loop: Header=BB2_361 Depth=2
	v_cmp_eq_u16_sdwa s24, v18, v41 src0_sel:BYTE_1 src1_sel:DWORD
	s_mov_b32 s10, -1
	s_and_saveexec_b32 s23, s24
; %bb.532:                              ;   in Loop: Header=BB2_361 Depth=2
	s_xor_b32 s10, exec_lo, -1
; %bb.533:                              ;   in Loop: Header=BB2_361 Depth=2
	s_or_b32 exec_lo, exec_lo, s23
	s_and_b32 s10, s10, exec_lo
	s_or_saveexec_b32 s22, s22
	v_mov_b32_e32 v21, 0x7f800001
	s_xor_b32 exec_lo, exec_lo, s22
	s_cbranch_execz .LBB2_395
.LBB2_534:                              ;   in Loop: Header=BB2_361 Depth=2
	v_cmp_ne_u16_sdwa s23, v18, v55 src0_sel:BYTE_1 src1_sel:DWORD
	v_mov_b32_e32 v21, 0
	s_andn2_b32 s10, s10, exec_lo
	s_and_b32 s23, s23, exec_lo
	s_or_b32 s10, s10, s23
	s_or_b32 exec_lo, exec_lo, s22
	s_and_saveexec_b32 s22, s10
	s_cbranch_execnz .LBB2_396
	s_branch .LBB2_397
.LBB2_535:                              ;   in Loop: Header=BB2_361 Depth=2
	v_cmp_eq_u16_sdwa s24, v84, v41 src0_sel:BYTE_1 src1_sel:DWORD
	s_mov_b32 s10, -1
	s_and_saveexec_b32 s23, s24
; %bb.536:                              ;   in Loop: Header=BB2_361 Depth=2
	s_xor_b32 s10, exec_lo, -1
; %bb.537:                              ;   in Loop: Header=BB2_361 Depth=2
	s_or_b32 exec_lo, exec_lo, s23
	s_and_b32 s10, s10, exec_lo
	s_or_saveexec_b32 s22, s22
	v_mov_b32_e32 v54, 0x7f800001
	s_xor_b32 exec_lo, exec_lo, s22
	s_cbranch_execz .LBB2_399
.LBB2_538:                              ;   in Loop: Header=BB2_361 Depth=2
	v_cmp_ne_u16_sdwa s23, v84, v55 src0_sel:BYTE_1 src1_sel:DWORD
	v_mov_b32_e32 v54, 0
	s_andn2_b32 s10, s10, exec_lo
	s_and_b32 s23, s23, exec_lo
	s_or_b32 s10, s10, s23
	s_or_b32 exec_lo, exec_lo, s22
	s_and_saveexec_b32 s22, s10
	s_cbranch_execnz .LBB2_400
	s_branch .LBB2_401
.LBB2_539:                              ;   in Loop: Header=BB2_361 Depth=2
	s_mov_b32 s10, -1
	s_mov_b32 s23, exec_lo
	v_cmpx_eq_u16_e32 0x80, v47
; %bb.540:                              ;   in Loop: Header=BB2_361 Depth=2
	s_xor_b32 s10, exec_lo, -1
; %bb.541:                              ;   in Loop: Header=BB2_361 Depth=2
	s_or_b32 exec_lo, exec_lo, s23
	s_and_b32 s10, s10, exec_lo
                                        ; implicit-def: $vgpr47
	s_or_saveexec_b32 s22, s22
	v_mov_b32_e32 v54, 0x7f800001
	s_xor_b32 exec_lo, exec_lo, s22
	s_cbranch_execz .LBB2_411
.LBB2_542:                              ;   in Loop: Header=BB2_361 Depth=2
	v_cmp_ne_u16_e32 vcc_lo, 0, v47
	v_mov_b32_e32 v54, 0
	s_andn2_b32 s10, s10, exec_lo
	s_and_b32 s23, vcc_lo, exec_lo
	s_or_b32 s10, s10, s23
	s_or_b32 exec_lo, exec_lo, s22
	s_and_saveexec_b32 s22, s10
	s_cbranch_execnz .LBB2_412
	s_branch .LBB2_413
.LBB2_543:                              ;   in Loop: Header=BB2_361 Depth=2
	s_mov_b32 s10, -1
	s_mov_b32 s23, exec_lo
	v_cmpx_eq_u16_e32 0x80, v56
; %bb.544:                              ;   in Loop: Header=BB2_361 Depth=2
	s_xor_b32 s10, exec_lo, -1
; %bb.545:                              ;   in Loop: Header=BB2_361 Depth=2
	s_or_b32 exec_lo, exec_lo, s23
	s_and_b32 s10, s10, exec_lo
                                        ; implicit-def: $vgpr56
	s_or_saveexec_b32 s22, s22
	v_mov_b32_e32 v47, 0x7f800001
	s_xor_b32 exec_lo, exec_lo, s22
	s_cbranch_execz .LBB2_415
.LBB2_546:                              ;   in Loop: Header=BB2_361 Depth=2
	v_cmp_ne_u16_e32 vcc_lo, 0, v56
	v_mov_b32_e32 v47, 0
	s_andn2_b32 s10, s10, exec_lo
	s_and_b32 s23, vcc_lo, exec_lo
	s_or_b32 s10, s10, s23
	s_or_b32 exec_lo, exec_lo, s22
	s_and_saveexec_b32 s22, s10
	s_cbranch_execnz .LBB2_416
	s_branch .LBB2_417
.LBB2_547:                              ;   in Loop: Header=BB2_361 Depth=2
	v_cmp_eq_u16_sdwa s24, v18, v41 src0_sel:BYTE_3 src1_sel:DWORD
	s_mov_b32 s10, -1
	s_and_saveexec_b32 s23, s24
; %bb.548:                              ;   in Loop: Header=BB2_361 Depth=2
	s_xor_b32 s10, exec_lo, -1
; %bb.549:                              ;   in Loop: Header=BB2_361 Depth=2
	s_or_b32 exec_lo, exec_lo, s23
	s_and_b32 s10, s10, exec_lo
	s_or_saveexec_b32 s22, s22
	v_mov_b32_e32 v47, 0x7f800001
	s_xor_b32 exec_lo, exec_lo, s22
	s_cbranch_execz .LBB2_427
.LBB2_550:                              ;   in Loop: Header=BB2_361 Depth=2
	v_cmp_ne_u16_sdwa s23, v18, v55 src0_sel:BYTE_3 src1_sel:DWORD
	v_mov_b32_e32 v47, 0
	s_andn2_b32 s10, s10, exec_lo
	s_and_b32 s23, s23, exec_lo
	s_or_b32 s10, s10, s23
	s_or_b32 exec_lo, exec_lo, s22
	s_and_saveexec_b32 s22, s10
	s_cbranch_execnz .LBB2_428
	s_branch .LBB2_429
.LBB2_551:                              ;   in Loop: Header=BB2_361 Depth=2
	v_cmp_eq_u16_sdwa s24, v84, v41 src0_sel:BYTE_3 src1_sel:DWORD
	s_mov_b32 s10, -1
	s_and_saveexec_b32 s23, s24
; %bb.552:                              ;   in Loop: Header=BB2_361 Depth=2
	s_xor_b32 s10, exec_lo, -1
; %bb.553:                              ;   in Loop: Header=BB2_361 Depth=2
	s_or_b32 exec_lo, exec_lo, s23
	s_and_b32 s10, s10, exec_lo
	s_or_saveexec_b32 s22, s22
	v_mov_b32_e32 v18, 0x7f800001
	s_xor_b32 exec_lo, exec_lo, s22
	s_cbranch_execz .LBB2_431
.LBB2_554:                              ;   in Loop: Header=BB2_361 Depth=2
	v_cmp_ne_u16_sdwa s23, v84, v55 src0_sel:BYTE_3 src1_sel:DWORD
	v_mov_b32_e32 v18, 0
	s_andn2_b32 s10, s10, exec_lo
	s_and_b32 s23, s23, exec_lo
	s_or_b32 s10, s10, s23
	s_or_b32 exec_lo, exec_lo, s22
	s_and_saveexec_b32 s22, s10
	s_cbranch_execnz .LBB2_432
	s_branch .LBB2_433
.LBB2_555:                              ;   in Loop: Header=BB2_361 Depth=2
	v_cmp_eq_u16_sdwa s24, v20, v41 src0_sel:BYTE_0 src1_sel:DWORD
	s_mov_b32 s10, -1
	s_and_saveexec_b32 s23, s24
; %bb.556:                              ;   in Loop: Header=BB2_361 Depth=2
	s_xor_b32 s10, exec_lo, -1
; %bb.557:                              ;   in Loop: Header=BB2_361 Depth=2
	s_or_b32 exec_lo, exec_lo, s23
	s_and_b32 s10, s10, exec_lo
	s_or_saveexec_b32 s22, s22
	v_mov_b32_e32 v84, 0x7f800001
	s_xor_b32 exec_lo, exec_lo, s22
	s_cbranch_execz .LBB2_443
.LBB2_558:                              ;   in Loop: Header=BB2_361 Depth=2
	v_cmp_ne_u16_sdwa s23, v20, v55 src0_sel:BYTE_0 src1_sel:DWORD
	v_mov_b32_e32 v84, 0
	s_andn2_b32 s10, s10, exec_lo
	s_and_b32 s23, s23, exec_lo
	s_or_b32 s10, s10, s23
	s_or_b32 exec_lo, exec_lo, s22
	s_and_saveexec_b32 s22, s10
	s_cbranch_execnz .LBB2_444
	s_branch .LBB2_445
.LBB2_559:                              ;   in Loop: Header=BB2_361 Depth=2
	v_cmp_eq_u16_sdwa s24, v83, v41 src0_sel:BYTE_0 src1_sel:DWORD
	s_mov_b32 s10, -1
	s_and_saveexec_b32 s23, s24
; %bb.560:                              ;   in Loop: Header=BB2_361 Depth=2
	s_xor_b32 s10, exec_lo, -1
; %bb.561:                              ;   in Loop: Header=BB2_361 Depth=2
	s_or_b32 exec_lo, exec_lo, s23
	s_and_b32 s10, s10, exec_lo
	s_or_saveexec_b32 s22, s22
	v_mov_b32_e32 v98, 0x7f800001
	s_xor_b32 exec_lo, exec_lo, s22
	s_cbranch_execz .LBB2_447
.LBB2_562:                              ;   in Loop: Header=BB2_361 Depth=2
	v_cmp_ne_u16_sdwa s23, v83, v55 src0_sel:BYTE_0 src1_sel:DWORD
	v_mov_b32_e32 v98, 0
	s_andn2_b32 s10, s10, exec_lo
	s_and_b32 s23, s23, exec_lo
	s_or_b32 s10, s10, s23
	s_or_b32 exec_lo, exec_lo, s22
	s_and_saveexec_b32 s22, s10
	s_cbranch_execnz .LBB2_448
	s_branch .LBB2_449
.LBB2_563:                              ;   in Loop: Header=BB2_361 Depth=2
	v_cmp_eq_u16_sdwa s24, v20, v41 src0_sel:BYTE_1 src1_sel:DWORD
	s_mov_b32 s10, -1
	s_and_saveexec_b32 s23, s24
; %bb.564:                              ;   in Loop: Header=BB2_361 Depth=2
	s_xor_b32 s10, exec_lo, -1
; %bb.565:                              ;   in Loop: Header=BB2_361 Depth=2
	s_or_b32 exec_lo, exec_lo, s23
	s_and_b32 s10, s10, exec_lo
	s_or_saveexec_b32 s22, s22
	v_mov_b32_e32 v98, 0x7f800001
	s_xor_b32 exec_lo, exec_lo, s22
	s_cbranch_execz .LBB2_459
.LBB2_566:                              ;   in Loop: Header=BB2_361 Depth=2
	v_cmp_ne_u16_sdwa s23, v20, v55 src0_sel:BYTE_1 src1_sel:DWORD
	v_mov_b32_e32 v98, 0
	s_andn2_b32 s10, s10, exec_lo
	s_and_b32 s23, s23, exec_lo
	s_or_b32 s10, s10, s23
	s_or_b32 exec_lo, exec_lo, s22
	s_and_saveexec_b32 s22, s10
	s_cbranch_execnz .LBB2_460
	s_branch .LBB2_461
.LBB2_567:                              ;   in Loop: Header=BB2_361 Depth=2
	v_cmp_eq_u16_sdwa s24, v83, v41 src0_sel:BYTE_1 src1_sel:DWORD
	s_mov_b32 s10, -1
	s_and_saveexec_b32 s23, s24
; %bb.568:                              ;   in Loop: Header=BB2_361 Depth=2
	s_xor_b32 s10, exec_lo, -1
; %bb.569:                              ;   in Loop: Header=BB2_361 Depth=2
	s_or_b32 exec_lo, exec_lo, s23
	s_and_b32 s10, s10, exec_lo
	s_or_saveexec_b32 s22, s22
	v_mov_b32_e32 v99, 0x7f800001
	s_xor_b32 exec_lo, exec_lo, s22
	s_cbranch_execz .LBB2_463
.LBB2_570:                              ;   in Loop: Header=BB2_361 Depth=2
	v_cmp_ne_u16_sdwa s23, v83, v55 src0_sel:BYTE_1 src1_sel:DWORD
	v_mov_b32_e32 v99, 0
	s_andn2_b32 s10, s10, exec_lo
	s_and_b32 s23, s23, exec_lo
	s_or_b32 s10, s10, s23
	s_or_b32 exec_lo, exec_lo, s22
	s_and_saveexec_b32 s22, s10
	s_cbranch_execnz .LBB2_464
	s_branch .LBB2_465
.LBB2_571:                              ;   in Loop: Header=BB2_361 Depth=2
	s_mov_b32 s10, -1
	s_mov_b32 s23, exec_lo
	v_cmpx_eq_u16_e32 0x80, v47
; %bb.572:                              ;   in Loop: Header=BB2_361 Depth=2
	s_xor_b32 s10, exec_lo, -1
; %bb.573:                              ;   in Loop: Header=BB2_361 Depth=2
	s_or_b32 exec_lo, exec_lo, s23
	s_and_b32 s10, s10, exec_lo
                                        ; implicit-def: $vgpr47
	s_or_saveexec_b32 s22, s22
	v_mov_b32_e32 v99, 0x7f800001
	s_xor_b32 exec_lo, exec_lo, s22
	s_cbranch_execz .LBB2_475
.LBB2_574:                              ;   in Loop: Header=BB2_361 Depth=2
	v_cmp_ne_u16_e32 vcc_lo, 0, v47
	v_mov_b32_e32 v99, 0
	s_andn2_b32 s10, s10, exec_lo
	s_and_b32 s23, vcc_lo, exec_lo
	s_or_b32 s10, s10, s23
	s_or_b32 exec_lo, exec_lo, s22
	s_and_saveexec_b32 s22, s10
	s_cbranch_execnz .LBB2_476
	s_branch .LBB2_477
.LBB2_575:                              ;   in Loop: Header=BB2_361 Depth=2
	s_mov_b32 s10, -1
	s_mov_b32 s23, exec_lo
	v_cmpx_eq_u16_e32 0x80, v56
; %bb.576:                              ;   in Loop: Header=BB2_361 Depth=2
	s_xor_b32 s10, exec_lo, -1
; %bb.577:                              ;   in Loop: Header=BB2_361 Depth=2
	s_or_b32 exec_lo, exec_lo, s23
	s_and_b32 s10, s10, exec_lo
                                        ; implicit-def: $vgpr56
	s_or_saveexec_b32 s22, s22
	v_mov_b32_e32 v47, 0x7f800001
	s_xor_b32 exec_lo, exec_lo, s22
	s_cbranch_execz .LBB2_479
.LBB2_578:                              ;   in Loop: Header=BB2_361 Depth=2
	v_cmp_ne_u16_e32 vcc_lo, 0, v56
	v_mov_b32_e32 v47, 0
	s_andn2_b32 s10, s10, exec_lo
	s_and_b32 s23, vcc_lo, exec_lo
	s_or_b32 s10, s10, s23
	s_or_b32 exec_lo, exec_lo, s22
	s_and_saveexec_b32 s22, s10
	s_cbranch_execnz .LBB2_480
	s_branch .LBB2_481
.LBB2_579:                              ;   in Loop: Header=BB2_361 Depth=2
	v_cmp_eq_u16_sdwa s24, v20, v41 src0_sel:BYTE_3 src1_sel:DWORD
	s_mov_b32 s10, -1
	s_and_saveexec_b32 s23, s24
; %bb.580:                              ;   in Loop: Header=BB2_361 Depth=2
	s_xor_b32 s10, exec_lo, -1
; %bb.581:                              ;   in Loop: Header=BB2_361 Depth=2
	s_or_b32 exec_lo, exec_lo, s23
	s_and_b32 s10, s10, exec_lo
	s_or_saveexec_b32 s22, s22
	v_mov_b32_e32 v47, 0x7f800001
	s_xor_b32 exec_lo, exec_lo, s22
	s_cbranch_execz .LBB2_491
.LBB2_582:                              ;   in Loop: Header=BB2_361 Depth=2
	v_cmp_ne_u16_sdwa s23, v20, v55 src0_sel:BYTE_3 src1_sel:DWORD
	v_mov_b32_e32 v47, 0
	s_andn2_b32 s10, s10, exec_lo
	s_and_b32 s23, s23, exec_lo
	s_or_b32 s10, s10, s23
	s_or_b32 exec_lo, exec_lo, s22
	s_and_saveexec_b32 s22, s10
	s_cbranch_execnz .LBB2_492
	s_branch .LBB2_493
.LBB2_583:                              ;   in Loop: Header=BB2_361 Depth=2
	v_cmp_eq_u16_sdwa s24, v83, v41 src0_sel:BYTE_3 src1_sel:DWORD
	s_mov_b32 s10, -1
	s_and_saveexec_b32 s23, s24
; %bb.584:                              ;   in Loop: Header=BB2_361 Depth=2
	s_xor_b32 s10, exec_lo, -1
; %bb.585:                              ;   in Loop: Header=BB2_361 Depth=2
	s_or_b32 exec_lo, exec_lo, s23
	s_and_b32 s10, s10, exec_lo
	s_or_saveexec_b32 s22, s22
	v_mov_b32_e32 v20, 0x7f800001
	s_xor_b32 exec_lo, exec_lo, s22
	s_cbranch_execz .LBB2_495
.LBB2_586:                              ;   in Loop: Header=BB2_361 Depth=2
	v_cmp_ne_u16_sdwa s23, v83, v55 src0_sel:BYTE_3 src1_sel:DWORD
	v_mov_b32_e32 v20, 0
	s_andn2_b32 s10, s10, exec_lo
	s_and_b32 s23, s23, exec_lo
	s_or_b32 s10, s10, s23
	s_or_b32 exec_lo, exec_lo, s22
	s_and_saveexec_b32 s22, s10
	s_cbranch_execnz .LBB2_496
	s_branch .LBB2_497
.LBB2_587:                              ;   in Loop: Header=BB2_36 Depth=1
	s_or_b32 exec_lo, exec_lo, s12
	s_or_b32 exec_lo, exec_lo, s11
	s_and_saveexec_b32 s10, s7
	s_cbranch_execz .LBB2_358
.LBB2_588:                              ;   in Loop: Header=BB2_36 Depth=1
	s_and_saveexec_b32 s11, s19
	s_xor_b32 s11, exec_lo, s11
	s_cbranch_execz .LBB2_603
; %bb.589:                              ;   in Loop: Header=BB2_36 Depth=1
	s_and_saveexec_b32 s12, s8
	s_cbranch_execz .LBB2_602
; %bb.590:                              ;   in Loop: Header=BB2_36 Depth=1
	s_mov_b32 s23, exec_lo
	s_mov_b32 s22, exec_lo
	v_mbcnt_lo_u32_b32 v18, s23, 0
	s_waitcnt vmcnt(0) lgkmcnt(0)
	s_waitcnt_vscnt null, 0x0
	buffer_gl1_inv
	buffer_gl0_inv
	v_cmpx_eq_u32_e32 0, v18
	s_cbranch_execz .LBB2_592
; %bb.591:                              ;   in Loop: Header=BB2_36 Depth=1
	s_bcnt1_i32_b32 s23, s23
	v_mov_b32_e32 v54, s23
	ds_add_u64 v0, v[54:55]
	s_trap 2
.LBB2_592:                              ;   in Loop: Header=BB2_36 Depth=1
	s_or_b32 exec_lo, exec_lo, s22
	s_trap 2
	ds_read_b64 v[18:19], v0
	s_waitcnt lgkmcnt(0)
	buffer_gl0_inv
	v_add_co_u32 v2, vcc_lo, v2, v102
	v_add_co_ci_u32_e64 v3, null, 0, v3, vcc_lo
	s_mov_b32 s22, exec_lo
	v_cmpx_lt_u64_e64 v[18:19], v[2:3]
	s_cbranch_execz .LBB2_601
; %bb.593:                              ;   in Loop: Header=BB2_36 Depth=1
	s_mov_b32 s23, 0
	s_mov_b32 s26, 0
                                        ; implicit-def: $sgpr24
                                        ; implicit-def: $sgpr25
	s_inst_prefetch 0x1
	s_branch .LBB2_595
	.p2align	6
.LBB2_594:                              ;   in Loop: Header=BB2_595 Depth=2
	s_or_b32 exec_lo, exec_lo, s28
	s_and_b32 s27, exec_lo, s29
	s_or_b32 s23, s27, s23
	s_andn2_b32 s24, s24, exec_lo
	s_and_b32 s27, s25, exec_lo
	s_or_b32 s24, s24, s27
	s_andn2_b32 exec_lo, exec_lo, s23
	s_cbranch_execz .LBB2_599
.LBB2_595:                              ;   Parent Loop BB2_36 Depth=1
                                        ; =>  This Inner Loop Header: Depth=2
	s_add_i32 s26, s26, 1
	s_cmpk_lg_i32 s26, 0x2710
	s_cselect_b32 s27, -1, 0
	s_and_b32 vcc_lo, exec_lo, s27
	s_cbranch_vccz .LBB2_597
; %bb.596:                              ;   in Loop: Header=BB2_595 Depth=2
	s_mov_b32 s29, -1
	s_or_b32 s25, s25, exec_lo
	s_and_saveexec_b32 s28, s27
	s_cbranch_execz .LBB2_594
	s_branch .LBB2_598
	.p2align	6
.LBB2_597:                              ;   in Loop: Header=BB2_595 Depth=2
	s_trap 2
	ds_read_b64 v[18:19], v0
	s_andn2_b32 s27, s27, exec_lo
	s_mov_b32 s26, 0
	s_waitcnt lgkmcnt(0)
	flat_load_dword v18, v[18:19] glc dlc
	s_waitcnt vmcnt(0) lgkmcnt(0)
	buffer_gl1_inv
	buffer_gl0_inv
	v_cmp_eq_u32_e32 vcc_lo, 0, v18
	s_and_b32 s28, vcc_lo, exec_lo
	s_or_b32 s27, s27, s28
	s_mov_b32 s29, -1
	s_or_b32 s25, s25, exec_lo
	s_and_saveexec_b32 s28, s27
	s_cbranch_execz .LBB2_594
.LBB2_598:                              ;   in Loop: Header=BB2_595 Depth=2
	s_sleep 1
	s_trap 2
	ds_read_b64 v[18:19], v0
	s_waitcnt lgkmcnt(0)
	buffer_gl0_inv
	s_andn2_b32 s25, s25, exec_lo
	v_cmp_ge_u64_e32 vcc_lo, v[18:19], v[2:3]
	s_orn2_b32 s29, vcc_lo, exec_lo
	s_branch .LBB2_594
.LBB2_599:                              ;   in Loop: Header=BB2_36 Depth=1
	s_inst_prefetch 0x2
	s_or_b32 exec_lo, exec_lo, s23
	s_and_saveexec_b32 s23, s24
	s_xor_b32 s23, exec_lo, s23
	s_cbranch_execz .LBB2_601
; %bb.600:                              ;   in Loop: Header=BB2_36 Depth=1
	ds_write_b32 v0, v119
	s_trap 2
.LBB2_601:                              ;   in Loop: Header=BB2_36 Depth=1
	s_or_b32 exec_lo, exec_lo, s22
	;;#ASMSTART
	s_wakeup
	;;#ASMEND
.LBB2_602:                              ;   in Loop: Header=BB2_36 Depth=1
	s_or_b32 exec_lo, exec_lo, s12
.LBB2_603:                              ;   in Loop: Header=BB2_36 Depth=1
	s_andn2_saveexec_b32 s11, s11
	s_cbranch_execz .LBB2_605
; %bb.604:                              ;   in Loop: Header=BB2_36 Depth=1
	s_waitcnt vmcnt(0) lgkmcnt(0)
	s_waitcnt_vscnt null, 0x0
	buffer_gl1_inv
	buffer_gl0_inv
	s_barrier
.LBB2_605:                              ;   in Loop: Header=BB2_36 Depth=1
	s_or_b32 exec_lo, exec_lo, s11
	s_or_b32 exec_lo, exec_lo, s10
	s_and_saveexec_b32 s10, s9
	s_cbranch_execz .LBB2_35
.LBB2_606:                              ;   in Loop: Header=BB2_36 Depth=1
	v_add_co_u32 v48, vcc_lo, v48, 1
	v_add_co_ci_u32_e64 v49, null, 0, v49, vcc_lo
	s_waitcnt vmcnt(0) lgkmcnt(0)
	s_waitcnt_vscnt null, 0x0
	flat_store_dwordx2 v[50:51], v[48:49]
	s_branch .LBB2_35
.LBB2_607:
	s_or_b32 exec_lo, exec_lo, s20
	s_or_b32 exec_lo, exec_lo, s17
	s_and_saveexec_b32 s5, s16
	s_cbranch_execz .LBB2_20
.LBB2_608:
	s_waitcnt vmcnt(0) lgkmcnt(0)
	flat_store_dwordx2 v[32:33], v[48:49] offset:104
	s_or_b32 exec_lo, exec_lo, s5
	s_and_saveexec_b32 s5, s4
	s_cbranch_execnz .LBB2_21
	s_branch .LBB2_22
.LBB2_609:
	s_inst_prefetch 0x2
	s_or_b32 exec_lo, exec_lo, s8
	s_and_saveexec_b32 s8, s9
	s_xor_b32 s8, exec_lo, s8
	s_cbranch_execz .LBB2_611
; %bb.610:
	v_mov_b32_e32 v0, 1
	ds_write_b32 v0, v0
	s_trap 2
.LBB2_611:
	s_or_b32 exec_lo, exec_lo, s7
	;;#ASMSTART
	s_wakeup
	;;#ASMEND
.LBB2_612:
	s_or_b32 exec_lo, exec_lo, s6
.LBB2_613:
	s_andn2_saveexec_b32 s5, s5
	s_cbranch_execz .LBB2_615
; %bb.614:
	s_waitcnt vmcnt(0) lgkmcnt(0)
	s_waitcnt_vscnt null, 0x0
	buffer_gl1_inv
	buffer_gl0_inv
	s_barrier
.LBB2_615:
	s_or_b32 exec_lo, exec_lo, s4
	s_clause 0x17
	buffer_load_dword v79, off, s[0:3], s32
	buffer_load_dword v78, off, s[0:3], s32 offset:4
	buffer_load_dword v77, off, s[0:3], s32 offset:8
	;; [unrolled: 1-line block ×23, first 2 shown]
	s_waitcnt vmcnt(0) lgkmcnt(0)
	s_setpc_b64 s[30:31]
.Lfunc_end2:
	.size	_ZN12_GLOBAL__N_17runRingI12rccl_bfloat88FuncProdIS1_E7ProtoLLLi0ELi2ELi0EEEviiP15ncclDevWorkColl, .Lfunc_end2-_ZN12_GLOBAL__N_17runRingI12rccl_bfloat88FuncProdIS1_E7ProtoLLLi0ELi2ELi0EEEviiP15ncclDevWorkColl
                                        ; -- End function
	.set .L_ZN12_GLOBAL__N_17runRingI12rccl_bfloat88FuncProdIS1_E7ProtoLLLi0ELi2ELi0EEEviiP15ncclDevWorkColl.num_vgpr, 120
	.set .L_ZN12_GLOBAL__N_17runRingI12rccl_bfloat88FuncProdIS1_E7ProtoLLLi0ELi2ELi0EEEviiP15ncclDevWorkColl.num_agpr, 0
	.set .L_ZN12_GLOBAL__N_17runRingI12rccl_bfloat88FuncProdIS1_E7ProtoLLLi0ELi2ELi0EEEviiP15ncclDevWorkColl.numbered_sgpr, 44
	.set .L_ZN12_GLOBAL__N_17runRingI12rccl_bfloat88FuncProdIS1_E7ProtoLLLi0ELi2ELi0EEEviiP15ncclDevWorkColl.num_named_barrier, 0
	.set .L_ZN12_GLOBAL__N_17runRingI12rccl_bfloat88FuncProdIS1_E7ProtoLLLi0ELi2ELi0EEEviiP15ncclDevWorkColl.private_seg_size, 100
	.set .L_ZN12_GLOBAL__N_17runRingI12rccl_bfloat88FuncProdIS1_E7ProtoLLLi0ELi2ELi0EEEviiP15ncclDevWorkColl.uses_vcc, 1
	.set .L_ZN12_GLOBAL__N_17runRingI12rccl_bfloat88FuncProdIS1_E7ProtoLLLi0ELi2ELi0EEEviiP15ncclDevWorkColl.uses_flat_scratch, 1
	.set .L_ZN12_GLOBAL__N_17runRingI12rccl_bfloat88FuncProdIS1_E7ProtoLLLi0ELi2ELi0EEEviiP15ncclDevWorkColl.has_dyn_sized_stack, 0
	.set .L_ZN12_GLOBAL__N_17runRingI12rccl_bfloat88FuncProdIS1_E7ProtoLLLi0ELi2ELi0EEEviiP15ncclDevWorkColl.has_recursion, 0
	.set .L_ZN12_GLOBAL__N_17runRingI12rccl_bfloat88FuncProdIS1_E7ProtoLLLi0ELi2ELi0EEEviiP15ncclDevWorkColl.has_indirect_call, 0
	.section	.AMDGPU.csdata,"",@progbits
; Function info:
; codeLenInByte = 21936
; TotalNumSgprs: 46
; NumVgprs: 120
; ScratchSize: 100
; MemoryBound: 0
	.text
	.p2align	2                               ; -- Begin function _Z51ncclDevFunc_ReduceScatter_RING_LL_Prod_f8e5m2_0_0_2v
	.type	_Z51ncclDevFunc_ReduceScatter_RING_LL_Prod_f8e5m2_0_0_2v,@function
_Z51ncclDevFunc_ReduceScatter_RING_LL_Prod_f8e5m2_0_0_2v: ; @_Z51ncclDevFunc_ReduceScatter_RING_LL_Prod_f8e5m2_0_0_2v
; %bb.0:
	s_waitcnt vmcnt(0) expcnt(0) lgkmcnt(0)
	s_mov_b32 s57, s33
	s_mov_b32 s33, s32
	s_or_saveexec_b32 s4, -1
	buffer_store_dword v42, off, s[0:3], s33 offset:8 ; 4-byte Folded Spill
	s_mov_b32 exec_lo, s4
	s_addk_i32 s32, 0x200
	buffer_store_dword v40, off, s[0:3], s33 offset:4 ; 4-byte Folded Spill
	buffer_store_dword v41, off, s[0:3], s33 ; 4-byte Folded Spill
	v_writelane_b32 v42, s30, 0
	v_writelane_b32 v42, s31, 1
	s_trap 2
	ds_read_b32 v0, v0
	s_waitcnt lgkmcnt(0)
	v_cmp_gt_i32_e32 vcc_lo, 1, v0
	s_cbranch_vccnz .LBB3_8
; %bb.1:
	v_and_b32_e32 v40, 0x3ff, v31
	v_mov_b32_e32 v41, 5
	s_mov_b32 s46, s12
	s_mov_b64 s[44:45], s[8:9]
	s_mov_b32 s47, 0
	s_inst_prefetch 0x1
	s_branch .LBB3_3
	.p2align	6
.LBB3_2:                                ;   in Loop: Header=BB3_3 Depth=1
	s_or_b32 exec_lo, exec_lo, s56
	s_trap 2
	ds_read_b32 v0, v0
	s_add_i32 s47, s47, 1
	s_waitcnt lgkmcnt(0)
	v_cmp_lt_i32_e32 vcc_lo, s47, v0
	s_cbranch_vccz .LBB3_8
.LBB3_3:                                ; =>This Inner Loop Header: Depth=1
	s_trap 2
	ds_read_b32 v0, v0
	s_cmp_eq_u32 s47, 0
	s_cbranch_scc1 .LBB3_6
; %bb.4:                                ;   in Loop: Header=BB3_3 Depth=1
	s_trap 2
	s_waitcnt lgkmcnt(0)
	ds_read_b32 v1, v0
	s_waitcnt lgkmcnt(0)
	v_xor_b32_e32 v1, v1, v0
	v_and_b32_e32 v1, 0xff0000, v1
	v_cmp_eq_u32_e32 vcc_lo, 0, v1
	s_cbranch_vccnz .LBB3_6
; %bb.5:                                ;   in Loop: Header=BB3_3 Depth=1
	s_waitcnt_vscnt null, 0x0
	s_barrier
	buffer_gl0_inv
	ds_read_b32 v0, v0
.LBB3_6:                                ;   in Loop: Header=BB3_3 Depth=1
	s_waitcnt lgkmcnt(0)
	v_lshlrev_b32_sdwa v1, v41, v0 dst_sel:DWORD dst_unused:UNUSED_PAD src0_sel:DWORD src1_sel:BYTE_2
	s_mov_b32 s56, exec_lo
	v_cmpx_lt_u32_e64 v40, v1
	s_cbranch_execz .LBB3_2
; %bb.7:                                ;   in Loop: Header=BB3_3 Depth=1
	s_mov_b64 s[4:5], src_shared_base
	v_mov_b32_e32 v0, v40
	v_mov_b32_e32 v3, s5
	s_getpc_b64 s[6:7]
	s_add_u32 s6, s6, _ZN12_GLOBAL__N_17runRingI12rccl_bfloat88FuncProdIS1_E7ProtoLLLi0ELi2ELi0EEEviiP15ncclDevWorkColl@rel32@lo+4
	s_addc_u32 s7, s7, _ZN12_GLOBAL__N_17runRingI12rccl_bfloat88FuncProdIS1_E7ProtoLLLi0ELi2ELi0EEEviiP15ncclDevWorkColl@rel32@hi+12
	s_mov_b64 s[8:9], s[44:45]
	s_mov_b32 s12, s46
	s_swappc_b64 s[30:31], s[6:7]
	s_branch .LBB3_2
.LBB3_8:
	s_inst_prefetch 0x2
	s_clause 0x1
	buffer_load_dword v41, off, s[0:3], s33
	buffer_load_dword v40, off, s[0:3], s33 offset:4
	v_readlane_b32 s30, v42, 0
	v_readlane_b32 s31, v42, 1
	s_mov_b32 s32, s33
	s_or_saveexec_b32 s4, -1
	buffer_load_dword v42, off, s[0:3], s33 offset:8 ; 4-byte Folded Reload
	s_mov_b32 exec_lo, s4
	s_mov_b32 s33, s57
	s_waitcnt vmcnt(0)
	s_setpc_b64 s[30:31]
.Lfunc_end3:
	.size	_Z51ncclDevFunc_ReduceScatter_RING_LL_Prod_f8e5m2_0_0_2v, .Lfunc_end3-_Z51ncclDevFunc_ReduceScatter_RING_LL_Prod_f8e5m2_0_0_2v
                                        ; -- End function
	.set .L_Z51ncclDevFunc_ReduceScatter_RING_LL_Prod_f8e5m2_0_0_2v.num_vgpr, max(43, .L_ZN12_GLOBAL__N_17runRingI12rccl_bfloat88FuncProdIS1_E7ProtoLLLi0ELi2ELi0EEEviiP15ncclDevWorkColl.num_vgpr)
	.set .L_Z51ncclDevFunc_ReduceScatter_RING_LL_Prod_f8e5m2_0_0_2v.num_agpr, max(0, .L_ZN12_GLOBAL__N_17runRingI12rccl_bfloat88FuncProdIS1_E7ProtoLLLi0ELi2ELi0EEEviiP15ncclDevWorkColl.num_agpr)
	.set .L_Z51ncclDevFunc_ReduceScatter_RING_LL_Prod_f8e5m2_0_0_2v.numbered_sgpr, max(58, .L_ZN12_GLOBAL__N_17runRingI12rccl_bfloat88FuncProdIS1_E7ProtoLLLi0ELi2ELi0EEEviiP15ncclDevWorkColl.numbered_sgpr)
	.set .L_Z51ncclDevFunc_ReduceScatter_RING_LL_Prod_f8e5m2_0_0_2v.num_named_barrier, max(0, .L_ZN12_GLOBAL__N_17runRingI12rccl_bfloat88FuncProdIS1_E7ProtoLLLi0ELi2ELi0EEEviiP15ncclDevWorkColl.num_named_barrier)
	.set .L_Z51ncclDevFunc_ReduceScatter_RING_LL_Prod_f8e5m2_0_0_2v.private_seg_size, 16+max(.L_ZN12_GLOBAL__N_17runRingI12rccl_bfloat88FuncProdIS1_E7ProtoLLLi0ELi2ELi0EEEviiP15ncclDevWorkColl.private_seg_size)
	.set .L_Z51ncclDevFunc_ReduceScatter_RING_LL_Prod_f8e5m2_0_0_2v.uses_vcc, or(1, .L_ZN12_GLOBAL__N_17runRingI12rccl_bfloat88FuncProdIS1_E7ProtoLLLi0ELi2ELi0EEEviiP15ncclDevWorkColl.uses_vcc)
	.set .L_Z51ncclDevFunc_ReduceScatter_RING_LL_Prod_f8e5m2_0_0_2v.uses_flat_scratch, or(0, .L_ZN12_GLOBAL__N_17runRingI12rccl_bfloat88FuncProdIS1_E7ProtoLLLi0ELi2ELi0EEEviiP15ncclDevWorkColl.uses_flat_scratch)
	.set .L_Z51ncclDevFunc_ReduceScatter_RING_LL_Prod_f8e5m2_0_0_2v.has_dyn_sized_stack, or(0, .L_ZN12_GLOBAL__N_17runRingI12rccl_bfloat88FuncProdIS1_E7ProtoLLLi0ELi2ELi0EEEviiP15ncclDevWorkColl.has_dyn_sized_stack)
	.set .L_Z51ncclDevFunc_ReduceScatter_RING_LL_Prod_f8e5m2_0_0_2v.has_recursion, or(1, .L_ZN12_GLOBAL__N_17runRingI12rccl_bfloat88FuncProdIS1_E7ProtoLLLi0ELi2ELi0EEEviiP15ncclDevWorkColl.has_recursion)
	.set .L_Z51ncclDevFunc_ReduceScatter_RING_LL_Prod_f8e5m2_0_0_2v.has_indirect_call, or(0, .L_ZN12_GLOBAL__N_17runRingI12rccl_bfloat88FuncProdIS1_E7ProtoLLLi0ELi2ELi0EEEviiP15ncclDevWorkColl.has_indirect_call)
	.section	.AMDGPU.csdata,"",@progbits
; Function info:
; codeLenInByte = 392
; TotalNumSgprs: 60
; NumVgprs: 120
; ScratchSize: 116
; MemoryBound: 0
	.text
	.p2align	2                               ; -- Begin function _ZN12_GLOBAL__N_17runRingI12rccl_bfloat88FuncProdIS1_E7ProtoLLLi0ELi4ELi0EEEviiP15ncclDevWorkColl
	.type	_ZN12_GLOBAL__N_17runRingI12rccl_bfloat88FuncProdIS1_E7ProtoLLLi0ELi4ELi0EEEviiP15ncclDevWorkColl,@function
_ZN12_GLOBAL__N_17runRingI12rccl_bfloat88FuncProdIS1_E7ProtoLLLi0ELi4ELi0EEEviiP15ncclDevWorkColl: ; @_ZN12_GLOBAL__N_17runRingI12rccl_bfloat88FuncProdIS1_E7ProtoLLLi0ELi4ELi0EEEviiP15ncclDevWorkColl
; %bb.0:
	s_waitcnt vmcnt(0) expcnt(0) lgkmcnt(0)
	buffer_store_dword v40, off, s[0:3], s32 offset:92 ; 4-byte Folded Spill
	buffer_store_dword v41, off, s[0:3], s32 offset:88 ; 4-byte Folded Spill
	;; [unrolled: 1-line block ×23, first 2 shown]
	buffer_store_dword v79, off, s[0:3], s32 ; 4-byte Folded Spill
	s_trap 2
	s_clause 0x2
	flat_load_dword v10, v[2:3]
	flat_load_dwordx4 v[6:9], v[2:3] offset:72
	flat_load_dwordx2 v[18:19], v[2:3] offset:88
	v_mov_b32_e32 v4, v0
                                        ; implicit-def: $vgpr26_vgpr27
	s_waitcnt vmcnt(2) lgkmcnt(2)
	v_not_b32_sdwa v0, v10 dst_sel:DWORD dst_unused:UNUSED_PAD src0_sel:BYTE_0
	ds_read_b32 v5, v0
	ds_read_b64 v[24:25], v0
	v_add_nc_u32_sdwa v11, v10, v0 dst_sel:DWORD dst_unused:UNUSED_PAD src0_sel:BYTE_1 src1_sel:DWORD
	v_ashrrev_i32_e32 v12, 31, v11
	s_waitcnt vmcnt(1) lgkmcnt(3)
	v_mul_lo_u32 v13, v9, v11
	v_mad_u64_u32 v[20:21], null, v8, v11, 0
	v_mul_lo_u32 v11, v8, v12
	v_add3_u32 v54, v21, v11, v13
	s_waitcnt lgkmcnt(1)
	v_readfirstlane_b32 s14, v5
	v_cmp_ne_u32_sdwa s4, v5, v10 src0_sel:DWORD src1_sel:BYTE_0
                                        ; implicit-def: $vgpr21_vgpr22
	s_and_saveexec_b32 s5, s4
	s_xor_b32 s4, exec_lo, s5
	s_cbranch_execz .LBB4_6
; %bb.1:
	v_cmp_ne_u32_sdwa s5, v5, v10 src0_sel:DWORD src1_sel:BYTE_1
                                        ; implicit-def: $vgpr21_vgpr22
                                        ; implicit-def: $vgpr26_vgpr27
	s_and_saveexec_b32 s6, s5
	s_xor_b32 s5, exec_lo, s6
	s_cbranch_execz .LBB4_3
; %bb.2:
	flat_load_dwordx2 v[10:11], v[2:3] offset:96
	v_add_nc_u32_e32 v0, v5, v0
	v_ashrrev_i32_e32 v5, 31, v0
	v_mul_lo_u32 v12, v9, v0
	v_mad_u64_u32 v[26:27], null, v8, v0, v[6:7]
	v_mul_lo_u32 v5, v8, v5
	v_add3_u32 v27, v12, v27, v5
	s_waitcnt vmcnt(0) lgkmcnt(0)
	v_lshrrev_b64 v[21:22], 17, v[10:11]
.LBB4_3:
	s_andn2_saveexec_b32 s5, s5
	s_cbranch_execz .LBB4_5
; %bb.4:
	flat_load_dword v0, v[2:3] offset:100
	v_add_co_u32 v26, vcc_lo, v20, v6
	s_waitcnt vmcnt(1)
	v_mov_b32_e32 v8, v18
	v_add_co_ci_u32_e64 v27, null, v54, v7, vcc_lo
	v_mov_b32_e32 v9, v19
	s_waitcnt vmcnt(0) lgkmcnt(0)
	v_lshrrev_b32_e32 v21, 6, v0
.LBB4_5:
	s_or_b32 exec_lo, exec_lo, s5
.LBB4_6:
	s_andn2_saveexec_b32 s4, s4
	s_cbranch_execz .LBB4_8
; %bb.7:
	flat_load_dwordx2 v[8:9], v[2:3] offset:96
	v_mov_b32_e32 v26, 0
	v_mov_b32_e32 v27, 0
	s_waitcnt vmcnt(0) lgkmcnt(0)
	v_lshlrev_b64 v[21:22], 4, v[8:9]
	v_mov_b32_e32 v9, v7
	v_mov_b32_e32 v8, v6
.LBB4_8:
	s_or_b32 exec_lo, exec_lo, s4
	s_load_dword s4, s[8:9], 0x0
	v_mov_b32_e32 v15, 0
	s_clause 0x1
	flat_load_ushort v17, v[2:3] offset:8
	flat_load_dword v16, v[2:3] offset:4
	v_ashrrev_i32_e32 v5, 31, v4
	v_mov_b32_e32 v28, 0
	v_mov_b32_e32 v29, 0
	s_mov_b32 s6, 0
	s_waitcnt lgkmcnt(0)
	s_cmp_lt_u32 s12, s4
	s_cselect_b32 s4, 12, 18
	s_add_u32 s4, s8, s4
	s_addc_u32 s5, s9, 0
	flat_load_dwordx4 v[10:13], v[2:3] offset:16
	global_load_ushort v0, v15, s[4:5]
	s_trap 2
	v_lshrrev_b32_e32 v2, 27, v5
	v_add_nc_u32_e32 v22, v4, v2
	s_waitcnt vmcnt(2)
	v_lshrrev_b64 v[2:3], 31, v[16:17]
	v_and_b32_e32 v3, 0xffffffe0, v22
	v_sub_nc_u32_e32 v30, v4, v3
	v_and_b32_e32 v2, 3, v2
	v_cmp_eq_u32_e64 s4, 0, v30
	v_and_b32_e32 v16, 0xffff, v2
	s_waitcnt vmcnt(0)
	ds_read_b32 v14, v0
	s_waitcnt lgkmcnt(0)
	v_cmp_gt_i32_e32 vcc_lo, 0, v14
	v_readfirstlane_b32 s5, v14
	s_cbranch_vccnz .LBB4_10
; %bb.9:
	s_trap 2
	ds_read_b64 v[2:3], v0
	v_lshlrev_b64 v[14:15], 3, v[14:15]
	s_mov_b32 s6, 1
	s_waitcnt lgkmcnt(0)
	v_add_co_u32 v2, vcc_lo, v2, v14
	v_add_co_ci_u32_e64 v3, null, v3, v15, vcc_lo
	flat_load_dwordx2 v[2:3], v[2:3]
	s_waitcnt vmcnt(0) lgkmcnt(0)
	v_mad_u64_u32 v[2:3], null, 0xa8, v16, v[2:3]
	s_clause 0x1
	flat_load_dwordx2 v[34:35], v[2:3] offset:504
	flat_load_dwordx2 v[36:37], v[2:3] offset:608
	v_add_co_u32 v32, vcc_lo, 0x1f8, v2
	v_add_co_ci_u32_e64 v33, null, 0, v3, vcc_lo
	v_cndmask_b32_e64 v2, 0, v32, s4
	v_cndmask_b32_e64 v3, 0, v33, s4
	s_branch .LBB4_11
.LBB4_10:
	v_mov_b32_e32 v32, 0
	v_mov_b32_e32 v2, 0
	;; [unrolled: 1-line block ×4, first 2 shown]
                                        ; implicit-def: $vgpr36_vgpr37
                                        ; implicit-def: $vgpr34_vgpr35
.LBB4_11:
	s_trap 2
	ds_read_b32 v14, v0
	s_waitcnt lgkmcnt(0)
	v_cmp_gt_i32_e32 vcc_lo, 0, v14
	s_cbranch_vccnz .LBB4_13
; %bb.12:
	s_trap 2
	ds_read_b64 v[22:23], v0
	v_mov_b32_e32 v15, 0
	v_lshlrev_b64 v[14:15], 3, v[14:15]
	s_waitcnt lgkmcnt(0)
	v_add_co_u32 v14, vcc_lo, v22, v14
	v_add_co_ci_u32_e64 v15, null, v23, v15, vcc_lo
	v_cmp_eq_u32_e32 vcc_lo, 0, v30
	flat_load_dwordx2 v[14:15], v[14:15]
	s_waitcnt vmcnt(0) lgkmcnt(0)
	v_mad_u64_u32 v[28:29], null, 0xa8, v16, v[14:15]
	s_clause 0x1
	flat_load_dwordx2 v[38:39], v[28:29]
	flat_load_dwordx2 v[22:23], v[28:29] offset:104
	v_cndmask_b32_e32 v17, 0, v29, vcc_lo
	v_cndmask_b32_e32 v16, 0, v28, vcc_lo
	s_branch .LBB4_14
.LBB4_13:
	v_mov_b32_e32 v16, 0
	v_mov_b32_e32 v17, 0
                                        ; implicit-def: $vgpr22_vgpr23
                                        ; implicit-def: $vgpr38_vgpr39
.LBB4_14:
	v_subrev_nc_u32_e32 v14, 32, v1
	v_cmp_gt_i32_e32 vcc_lo, s6, v30
	v_mov_b32_e32 v50, 0
	v_mov_b32_e32 v51, 0
                                        ; implicit-def: $vgpr48_vgpr49
	v_cmp_ge_i32_e64 s4, v4, v14
	v_mov_b32_e32 v14, 0
	v_mov_b32_e32 v15, 0
	s_and_b32 s16, s4, vcc_lo
	s_and_saveexec_b32 s4, s16
	s_cbranch_execz .LBB4_16
; %bb.15:
	s_clause 0x1
	flat_load_dwordx2 v[50:51], v[2:3] offset:56
	flat_load_dwordx2 v[48:49], v[2:3] offset:104
.LBB4_16:
	s_or_b32 exec_lo, exec_lo, s4
	v_mov_b32_e32 v52, 0
	v_mov_b32_e32 v53, 0
	v_cmp_gt_i32_e64 s4, s6, v4
                                        ; implicit-def: $vgpr64_vgpr65
	s_and_saveexec_b32 s6, s4
	s_cbranch_execz .LBB4_18
; %bb.17:
	flat_load_dwordx2 v[52:53], v[16:17] offset:56
	s_waitcnt vmcnt(0) lgkmcnt(0)
	flat_load_dwordx2 v[64:65], v[52:53] glc dlc
	s_waitcnt vmcnt(0)
	flat_load_dwordx4 v[14:17], v[16:17] offset:96
.LBB4_18:
	s_or_b32 exec_lo, exec_lo, s6
	v_mov_b32_e32 v2, 0
	v_mov_b32_e32 v3, 0
	s_mov_b32 s17, exec_lo
	v_cmpx_ne_u64_e32 0, v[8:9]
	s_cbranch_execnz .LBB4_34
; %bb.19:
	s_or_b32 exec_lo, exec_lo, s17
	s_and_saveexec_b32 s5, s16
	s_cbranch_execnz .LBB4_608
.LBB4_20:
	s_or_b32 exec_lo, exec_lo, s5
	s_and_saveexec_b32 s5, s4
	s_cbranch_execz .LBB4_22
.LBB4_21:
	s_waitcnt vmcnt(0) lgkmcnt(0)
	flat_store_dwordx2 v[28:29], v[16:17] offset:104
.LBB4_22:
	s_or_b32 exec_lo, exec_lo, s5
	s_mov_b32 s4, exec_lo
	v_cmpx_ne_u32_e32 32, v1
	s_cbranch_execz .LBB4_615
; %bb.23:
	v_cmp_ne_u32_sdwa s5, v1, v0 src0_sel:DWORD src1_sel:WORD_0
	s_and_saveexec_b32 s6, s5
	s_xor_b32 s5, exec_lo, s6
	s_cbranch_execz .LBB4_613
; %bb.24:
	v_and_b32_e32 v0, 31, v31
	s_mov_b32 s6, exec_lo
	v_cmpx_eq_u32_e32 0, v0
	s_cbranch_execz .LBB4_612
; %bb.25:
	s_mov_b32 s8, exec_lo
	s_mov_b32 s7, exec_lo
	v_mbcnt_lo_u32_b32 v0, s8, 0
	s_waitcnt vmcnt(0) lgkmcnt(0)
	s_waitcnt_vscnt null, 0x0
	buffer_gl1_inv
	buffer_gl0_inv
	v_cmpx_eq_u32_e32 0, v0
	s_cbranch_execz .LBB4_27
; %bb.26:
	s_bcnt1_i32_b32 s8, s8
	v_mov_b32_e32 v5, 0
	v_mov_b32_e32 v4, s8
	ds_add_u64 v0, v[4:5]
	s_trap 2
.LBB4_27:
	s_or_b32 exec_lo, exec_lo, s7
	s_trap 2
	ds_read_b64 v[4:5], v0
	s_waitcnt lgkmcnt(0)
	buffer_gl0_inv
	v_lshrrev_b32_e32 v0, 5, v1
	s_mov_b32 s7, exec_lo
	v_add_co_u32 v0, vcc_lo, v2, v0
	v_add_co_ci_u32_e64 v1, null, 0, v3, vcc_lo
	v_cmpx_lt_u64_e64 v[4:5], v[0:1]
	s_cbranch_execz .LBB4_611
; %bb.28:
	s_mov_b32 s8, 0
	s_mov_b32 s11, 0
                                        ; implicit-def: $sgpr9
                                        ; implicit-def: $sgpr10
	s_inst_prefetch 0x1
	s_branch .LBB4_30
	.p2align	6
.LBB4_29:                               ;   in Loop: Header=BB4_30 Depth=1
	s_or_b32 exec_lo, exec_lo, s13
	s_and_b32 s12, exec_lo, s14
	s_or_b32 s8, s12, s8
	s_andn2_b32 s9, s9, exec_lo
	s_and_b32 s12, s10, exec_lo
	s_or_b32 s9, s9, s12
	s_andn2_b32 exec_lo, exec_lo, s8
	s_cbranch_execz .LBB4_609
.LBB4_30:                               ; =>This Inner Loop Header: Depth=1
	s_add_i32 s11, s11, 1
	s_cmpk_lg_i32 s11, 0x2710
	s_cselect_b32 s12, -1, 0
	s_and_b32 vcc_lo, exec_lo, s12
	s_cbranch_vccz .LBB4_32
; %bb.31:                               ;   in Loop: Header=BB4_30 Depth=1
	s_mov_b32 s14, -1
	s_or_b32 s10, s10, exec_lo
	s_and_saveexec_b32 s13, s12
	s_cbranch_execz .LBB4_29
	s_branch .LBB4_33
	.p2align	6
.LBB4_32:                               ;   in Loop: Header=BB4_30 Depth=1
	s_trap 2
	ds_read_b64 v[2:3], v0
	s_andn2_b32 s12, s12, exec_lo
	s_mov_b32 s11, 0
	s_waitcnt lgkmcnt(0)
	flat_load_dword v2, v[2:3] glc dlc
	s_waitcnt vmcnt(0) lgkmcnt(0)
	buffer_gl1_inv
	buffer_gl0_inv
	v_cmp_eq_u32_e32 vcc_lo, 0, v2
	s_and_b32 s13, vcc_lo, exec_lo
	s_or_b32 s12, s12, s13
	s_mov_b32 s14, -1
	s_or_b32 s10, s10, exec_lo
	s_and_saveexec_b32 s13, s12
	s_cbranch_execz .LBB4_29
.LBB4_33:                               ;   in Loop: Header=BB4_30 Depth=1
	s_sleep 1
	s_trap 2
	ds_read_b64 v[2:3], v0
	s_waitcnt lgkmcnt(0)
	buffer_gl0_inv
	s_andn2_b32 s10, s10, exec_lo
	v_cmp_ge_u64_e32 vcc_lo, v[2:3], v[0:1]
	s_orn2_b32 s14, vcc_lo, exec_lo
	s_branch .LBB4_29
.LBB4_34:
	s_ashr_i32 s6, s5, 31
	s_ashr_i32 s15, s14, 31
	s_lshr_b32 s6, s6, 29
	v_add_co_u32 v2, vcc_lo, v18, v6
	s_add_i32 s5, s5, s6
	s_lshl_b64 s[6:7], s[14:15], 2
	v_lshlrev_b32_e32 v101, 3, v4
	v_add_co_ci_u32_e64 v3, null, v19, v7, vcc_lo
	v_add_co_u32 v6, vcc_lo, v24, s6
	v_add_co_ci_u32_e64 v7, null, s7, v25, vcc_lo
	v_add_co_u32 v30, vcc_lo, v2, v20
	v_ashrrev_i32_e32 v112, 31, v101
	v_add_co_ci_u32_e64 v100, null, v3, v54, vcc_lo
	v_add_co_u32 v6, vcc_lo, v6, -4
	v_and_b32_e32 v2, 31, v31
	v_add_co_ci_u32_e64 v7, null, -1, v7, vcc_lo
	v_add_co_u32 v113, vcc_lo, v12, v101
	s_ashr_i32 s8, s5, 3
	v_add_co_ci_u32_e64 v114, null, v13, v112, vcc_lo
	v_add_co_u32 v115, vcc_lo, v10, v101
	v_mov_b32_e32 v55, 0
	s_and_b32 s15, s8, -16
	v_cmp_eq_u32_e64 s8, 0, v2
	v_add_co_ci_u32_e64 v116, null, v11, v112, vcc_lo
	v_add_co_u32 v2, vcc_lo, v26, v12
	v_lshlrev_b64 v[18:19], 4, v[4:5]
	v_add_co_ci_u32_e64 v3, null, v27, v13, vcc_lo
	v_add_co_u32 v10, vcc_lo, v2, v101
	v_mov_b32_e32 v2, v55
	v_add_co_ci_u32_e64 v11, null, v3, v112, vcc_lo
	s_waitcnt vmcnt(1) lgkmcnt(1)
	v_add_co_u32 v117, vcc_lo, v38, v18
	s_ashr_i32 s18, s5, 7
	v_mov_b32_e32 v68, 0
	v_cmp_ne_u64_e64 s5, 0, v[52:53]
	s_waitcnt vmcnt(0) lgkmcnt(0)
	v_cmp_ne_u64_e64 s6, 0, v[14:15]
	v_cmp_ne_u64_e64 s9, 0, v[50:51]
	v_lshlrev_b64 v[70:71], 4, v[1:2]
	v_mov_b32_e32 v2, 0
	v_and_b32_e32 v66, 0x1fffff0, v21
	v_mov_b32_e32 v67, v55
	v_mov_b32_e32 v69, 0
	v_cmp_ne_u32_e64 s7, 32, v1
	v_cmp_ne_u32_sdwa s19, v1, v0 src0_sel:DWORD src1_sel:WORD_0
	v_lshrrev_b32_e32 v102, 5, v1
	v_lshlrev_b32_e32 v103, 3, v1
	v_lshlrev_b32_e32 v5, 6, v1
	v_add_co_ci_u32_e64 v118, null, v39, v19, vcc_lo
	v_mov_b32_e32 v119, 1
	v_mov_b32_e32 v40, 0x7f
	;; [unrolled: 1-line block ×8, first 2 shown]
	s_cmp_gt_i32 s14, 2
	s_mov_b32 s13, 0
	s_cselect_b32 s21, -1, 0
	s_mov_b32 s20, 0
	s_branch .LBB4_36
.LBB4_35:                               ;   in Loop: Header=BB4_36 Depth=1
	s_or_b32 exec_lo, exec_lo, s10
	v_add_co_u32 v68, vcc_lo, v68, v66
	v_add_co_ci_u32_e64 v69, null, 0, v69, vcc_lo
	v_add_co_u32 v36, vcc_lo, v36, 1
	v_add_co_ci_u32_e64 v37, null, 0, v37, vcc_lo
	v_cmp_ge_u64_e32 vcc_lo, v[68:69], v[8:9]
	v_add_co_u32 v10, s10, v10, v66
	v_add_co_ci_u32_e64 v11, null, 0, v11, s10
	s_or_b32 s20, vcc_lo, s20
	s_andn2_b32 exec_lo, exec_lo, s20
	s_cbranch_execz .LBB4_607
.LBB4_36:                               ; =>This Loop Header: Depth=1
                                        ;     Child Loop BB4_41 Depth 2
                                        ;     Child Loop BB4_60 Depth 2
	;; [unrolled: 1-line block ×5, first 2 shown]
                                        ;       Child Loop BB4_90 Depth 3
                                        ;       Child Loop BB4_109 Depth 3
	;; [unrolled: 1-line block ×3, first 2 shown]
                                        ;         Child Loop BB4_139 Depth 4
                                        ;       Child Loop BB4_345 Depth 3
                                        ;       Child Loop BB4_126 Depth 3
                                        ;     Child Loop BB4_361 Depth 2
                                        ;       Child Loop BB4_369 Depth 3
                                        ;     Child Loop BB4_595 Depth 2
	s_waitcnt vmcnt(0) lgkmcnt(0)
	flat_load_dword v20, v[6:7]
	v_sub_co_u32 v18, vcc_lo, v8, v68
	v_sub_co_ci_u32_e64 v19, null, v9, v69, vcc_lo
	v_cmp_lt_u64_e32 vcc_lo, v[66:67], v[18:19]
	v_cndmask_b32_e32 v21, v18, v66, vcc_lo
	v_lshl_add_u32 v18, v21, 1, 14
	v_and_b32_e32 v47, 0x7fffff0, v18
	s_and_saveexec_b32 s11, s5
	s_cbranch_execz .LBB4_52
; %bb.37:                               ;   in Loop: Header=BB4_36 Depth=1
	v_add_co_u32 v18, vcc_lo, v16, 1
	v_add_co_ci_u32_e64 v19, null, 0, v17, vcc_lo
	v_add_co_u32 v80, vcc_lo, v64, 8
	v_add_co_ci_u32_e64 v81, null, 0, v65, vcc_lo
	s_mov_b32 s12, exec_lo
	v_cmpx_lt_u64_e64 v[80:81], v[18:19]
	s_cbranch_execz .LBB4_49
; %bb.38:                               ;   in Loop: Header=BB4_36 Depth=1
	s_mov_b32 s22, 0
	s_mov_b32 s26, 0
	v_cmp_eq_u32_e32 vcc_lo, 0, v45
                                        ; implicit-def: $sgpr23
                                        ; implicit-def: $sgpr24
                                        ; implicit-def: $sgpr25
	s_branch .LBB4_41
.LBB4_39:                               ;   in Loop: Header=BB4_41 Depth=2
	s_or_b32 exec_lo, exec_lo, s41
	v_mov_b32_e32 v54, 0
	s_andn2_b32 s10, s25, exec_lo
	s_and_b32 s25, s29, exec_lo
	s_andn2_b32 s24, s24, exec_lo
	s_and_b32 s28, s28, exec_lo
	s_or_b32 s25, s10, s25
	s_or_b32 s24, s24, s28
.LBB4_40:                               ;   in Loop: Header=BB4_41 Depth=2
	s_or_b32 exec_lo, exec_lo, s27
	s_and_b32 s10, exec_lo, s24
	s_or_b32 s22, s10, s22
	s_andn2_b32 s10, s23, exec_lo
	s_and_b32 s23, s25, exec_lo
	s_or_b32 s23, s10, s23
	s_andn2_b32 exec_lo, exec_lo, s22
	s_cbranch_execz .LBB4_46
.LBB4_41:                               ;   Parent Loop BB4_36 Depth=1
                                        ; =>  This Inner Loop Header: Depth=2
	s_sleep 1
	s_waitcnt vmcnt(0) lgkmcnt(0)
	flat_load_dwordx2 v[64:65], v[52:53] glc dlc
	v_mov_b32_e32 v54, v45
	s_or_b32 s25, s25, exec_lo
	s_or_b32 s24, s24, exec_lo
                                        ; implicit-def: $vgpr17
	s_and_saveexec_b32 s27, vcc_lo
	s_cbranch_execz .LBB4_40
; %bb.42:                               ;   in Loop: Header=BB4_41 Depth=2
	s_add_i32 s26, s26, 1
	s_mov_b32 s28, -1
	s_cmpk_lg_i32 s26, 0x2710
	s_mov_b32 s29, -1
	s_cselect_b32 s40, -1, 0
	s_cmpk_eq_i32 s26, 0x2710
                                        ; implicit-def: $vgpr17
	s_cbranch_scc1 .LBB4_44
; %bb.43:                               ;   in Loop: Header=BB4_41 Depth=2
	s_and_saveexec_b32 s41, s40
	s_cbranch_execz .LBB4_39
	s_branch .LBB4_45
.LBB4_44:                               ;   in Loop: Header=BB4_41 Depth=2
	s_trap 2
	ds_read_b64 v[80:81], v0
	s_andn2_b32 s26, s40, exec_lo
	s_mov_b32 s29, 0
	s_waitcnt vmcnt(0) lgkmcnt(0)
	s_waitcnt_vscnt null, 0x0
	flat_load_dword v17, v[80:81] glc dlc
	s_waitcnt vmcnt(0) lgkmcnt(0)
	buffer_gl1_inv
	buffer_gl0_inv
	v_cmp_eq_u32_e64 s10, 0, v17
	s_and_b32 s10, s10, exec_lo
	s_or_b32 s40, s26, s10
	s_mov_b32 s26, 0
	s_and_saveexec_b32 s41, s40
	s_cbranch_execz .LBB4_39
.LBB4_45:                               ;   in Loop: Header=BB4_41 Depth=2
	s_waitcnt vmcnt(0) lgkmcnt(0)
	v_add_co_u32 v80, s10, v64, 8
	v_add_co_ci_u32_e64 v81, null, 0, v65, s10
	s_or_b32 s29, s29, exec_lo
	v_cmp_ge_u64_e64 s10, v[80:81], v[18:19]
	s_orn2_b32 s28, s10, exec_lo
	s_branch .LBB4_39
.LBB4_46:                               ;   in Loop: Header=BB4_36 Depth=1
	s_or_b32 exec_lo, exec_lo, s22
	s_xor_b32 s10, s23, -1
	s_and_saveexec_b32 s22, s10
	s_xor_b32 s10, exec_lo, s22
	s_cbranch_execz .LBB4_48
; %bb.47:                               ;   in Loop: Header=BB4_36 Depth=1
	v_mov_b32_e32 v54, 1
	s_waitcnt vmcnt(0) lgkmcnt(0)
	s_waitcnt_vscnt null, 0x0
	ds_write_b32 v0, v17
	s_trap 2
.LBB4_48:                               ;   in Loop: Header=BB4_36 Depth=1
	s_or_b32 exec_lo, exec_lo, s10
	v_mov_b32_e32 v45, v54
.LBB4_49:                               ;   in Loop: Header=BB4_36 Depth=1
	s_or_b32 exec_lo, exec_lo, s12
	s_and_saveexec_b32 s10, s6
	s_cbranch_execz .LBB4_51
; %bb.50:                               ;   in Loop: Header=BB4_36 Depth=1
	v_and_b32_e32 v54, 0x7ffffff8, v16
	v_and_b32_e32 v17, 7, v16
	v_cmp_eq_u64_e32 vcc_lo, 0x7ffffff8, v[54:55]
	v_mad_u64_u32 v[80:81], null, v17, 24, v[14:15]
	v_cndmask_b32_e64 v16, v47, s15, vcc_lo
	v_ashrrev_i32_e32 v17, 31, v16
	flat_store_dwordx2 v[80:81], v[16:17] offset:8
	s_waitcnt_vscnt null, 0x0
.LBB4_51:                               ;   in Loop: Header=BB4_36 Depth=1
	s_or_b32 exec_lo, exec_lo, s10
	v_mov_b32_e32 v16, v18
	v_mov_b32_e32 v17, v19
.LBB4_52:                               ;   in Loop: Header=BB4_36 Depth=1
	s_or_b32 exec_lo, exec_lo, s11
	s_and_saveexec_b32 s10, s7
	s_cbranch_execz .LBB4_71
; %bb.53:                               ;   in Loop: Header=BB4_36 Depth=1
	s_and_saveexec_b32 s11, s19
	s_xor_b32 s11, exec_lo, s11
	s_cbranch_execz .LBB4_68
; %bb.54:                               ;   in Loop: Header=BB4_36 Depth=1
	s_and_saveexec_b32 s12, s8
	s_cbranch_execz .LBB4_67
; %bb.55:                               ;   in Loop: Header=BB4_36 Depth=1
	s_mov_b32 s23, exec_lo
	s_mov_b32 s22, exec_lo
	v_mbcnt_lo_u32_b32 v18, s23, 0
	s_waitcnt vmcnt(0) lgkmcnt(0)
	s_waitcnt_vscnt null, 0x0
	buffer_gl1_inv
	buffer_gl0_inv
	v_cmpx_eq_u32_e32 0, v18
	s_cbranch_execz .LBB4_57
; %bb.56:                               ;   in Loop: Header=BB4_36 Depth=1
	s_bcnt1_i32_b32 s23, s23
	v_mov_b32_e32 v54, s23
	ds_add_u64 v0, v[54:55]
	s_trap 2
.LBB4_57:                               ;   in Loop: Header=BB4_36 Depth=1
	s_or_b32 exec_lo, exec_lo, s22
	s_trap 2
	ds_read_b64 v[18:19], v0
	s_waitcnt lgkmcnt(0)
	buffer_gl0_inv
	v_add_co_u32 v2, vcc_lo, v2, v102
	v_add_co_ci_u32_e64 v3, null, 0, v3, vcc_lo
	s_mov_b32 s22, exec_lo
	v_cmpx_lt_u64_e64 v[18:19], v[2:3]
	s_cbranch_execz .LBB4_66
; %bb.58:                               ;   in Loop: Header=BB4_36 Depth=1
	s_mov_b32 s23, 0
	s_mov_b32 s26, 0
                                        ; implicit-def: $sgpr24
                                        ; implicit-def: $sgpr25
	s_inst_prefetch 0x1
	s_branch .LBB4_60
	.p2align	6
.LBB4_59:                               ;   in Loop: Header=BB4_60 Depth=2
	s_or_b32 exec_lo, exec_lo, s28
	s_and_b32 s27, exec_lo, s29
	s_or_b32 s23, s27, s23
	s_andn2_b32 s24, s24, exec_lo
	s_and_b32 s27, s25, exec_lo
	s_or_b32 s24, s24, s27
	s_andn2_b32 exec_lo, exec_lo, s23
	s_cbranch_execz .LBB4_64
.LBB4_60:                               ;   Parent Loop BB4_36 Depth=1
                                        ; =>  This Inner Loop Header: Depth=2
	s_add_i32 s26, s26, 1
	s_cmpk_lg_i32 s26, 0x2710
	s_cselect_b32 s27, -1, 0
	s_and_b32 vcc_lo, exec_lo, s27
	s_cbranch_vccz .LBB4_62
; %bb.61:                               ;   in Loop: Header=BB4_60 Depth=2
	s_mov_b32 s29, -1
	s_or_b32 s25, s25, exec_lo
	s_and_saveexec_b32 s28, s27
	s_cbranch_execz .LBB4_59
	s_branch .LBB4_63
	.p2align	6
.LBB4_62:                               ;   in Loop: Header=BB4_60 Depth=2
	s_trap 2
	ds_read_b64 v[18:19], v0
	s_andn2_b32 s27, s27, exec_lo
	s_mov_b32 s26, 0
	s_waitcnt lgkmcnt(0)
	flat_load_dword v18, v[18:19] glc dlc
	s_waitcnt vmcnt(0) lgkmcnt(0)
	buffer_gl1_inv
	buffer_gl0_inv
	v_cmp_eq_u32_e32 vcc_lo, 0, v18
	s_and_b32 s28, vcc_lo, exec_lo
	s_or_b32 s27, s27, s28
	s_mov_b32 s29, -1
	s_or_b32 s25, s25, exec_lo
	s_and_saveexec_b32 s28, s27
	s_cbranch_execz .LBB4_59
.LBB4_63:                               ;   in Loop: Header=BB4_60 Depth=2
	s_sleep 1
	s_trap 2
	ds_read_b64 v[18:19], v0
	s_waitcnt lgkmcnt(0)
	buffer_gl0_inv
	s_andn2_b32 s25, s25, exec_lo
	v_cmp_ge_u64_e32 vcc_lo, v[18:19], v[2:3]
	s_orn2_b32 s29, vcc_lo, exec_lo
	s_branch .LBB4_59
.LBB4_64:                               ;   in Loop: Header=BB4_36 Depth=1
	s_inst_prefetch 0x2
	s_or_b32 exec_lo, exec_lo, s23
	s_and_saveexec_b32 s23, s24
	s_xor_b32 s23, exec_lo, s23
	s_cbranch_execz .LBB4_66
; %bb.65:                               ;   in Loop: Header=BB4_36 Depth=1
	ds_write_b32 v0, v119
	s_trap 2
.LBB4_66:                               ;   in Loop: Header=BB4_36 Depth=1
	s_or_b32 exec_lo, exec_lo, s22
	;;#ASMSTART
	s_wakeup
	;;#ASMEND
.LBB4_67:                               ;   in Loop: Header=BB4_36 Depth=1
	s_or_b32 exec_lo, exec_lo, s12
.LBB4_68:                               ;   in Loop: Header=BB4_36 Depth=1
	s_andn2_saveexec_b32 s11, s11
	s_cbranch_execz .LBB4_70
; %bb.69:                               ;   in Loop: Header=BB4_36 Depth=1
	s_waitcnt vmcnt(0) lgkmcnt(0)
	s_waitcnt_vscnt null, 0x0
	buffer_gl1_inv
	buffer_gl0_inv
	s_barrier
.LBB4_70:                               ;   in Loop: Header=BB4_36 Depth=1
	s_or_b32 exec_lo, exec_lo, s11
.LBB4_71:                               ;   in Loop: Header=BB4_36 Depth=1
	s_or_b32 exec_lo, exec_lo, s10
	v_sub_nc_u32_e32 v46, v21, v101
	v_and_b32_e32 v85, 7, v22
	v_add_nc_u32_e32 v19, 1, v22
	v_mov_b32_e32 v80, v4
	v_cmp_lt_i32_e64 s10, 0, v46
	s_and_saveexec_b32 s12, s10
	s_cbranch_execz .LBB4_79
; %bb.72:                               ;   in Loop: Header=BB4_36 Depth=1
	v_mul_lo_u32 v83, v85, s18
	s_waitcnt vmcnt(0) lgkmcnt(0)
	v_ashrrev_i32_e32 v18, 31, v20
	v_mad_u64_u32 v[81:82], null, v30, v20, v[10:11]
	v_mul_lo_u32 v54, v100, v20
	v_mul_lo_u32 v80, v30, v20
	;; [unrolled: 1-line block ×3, first 2 shown]
	v_mov_b32_e32 v86, v46
	v_ashrrev_i32_e32 v84, 31, v83
	s_mov_b32 s22, 0
	v_add_lshl_u32 v87, v10, v80, 3
	v_lshlrev_b64 v[20:21], 4, v[83:84]
	v_add3_u32 v82, v54, v82, v18
	v_mov_b32_e32 v80, v4
	v_add_co_u32 v83, vcc_lo, v117, v20
	v_add_co_ci_u32_e64 v84, null, v118, v21, vcc_lo
	s_inst_prefetch 0x1
	s_branch .LBB4_74
	.p2align	6
.LBB4_73:                               ;   in Loop: Header=BB4_74 Depth=2
	s_or_b32 exec_lo, exec_lo, s11
	s_waitcnt vmcnt(0)
	v_alignbit_b32 v18, v97, v18, v87
	v_alignbit_b32 v20, v96, v97, v87
	v_mov_b32_e32 v21, v19
	v_sub_nc_u32_e32 v86, v86, v103
	v_add_co_u32 v81, vcc_lo, v81, v103
	v_add_co_ci_u32_e64 v82, null, 0, v82, vcc_lo
	global_store_dwordx4 v[83:84], v[18:21], off
	v_cmp_gt_i32_e32 vcc_lo, 1, v86
	v_add_co_u32 v83, s11, v83, v70
	v_add_nc_u32_e32 v80, v80, v1
	v_add_nc_u32_e32 v87, v87, v5
	v_add_co_ci_u32_e64 v84, null, v84, v71, s11
	s_or_b32 s22, vcc_lo, s22
	s_andn2_b32 exec_lo, exec_lo, s22
	s_cbranch_execz .LBB4_78
.LBB4_74:                               ;   Parent Loop BB4_36 Depth=1
                                        ; =>  This Inner Loop Header: Depth=2
	v_and_b32_e32 v20, -4, v81
	v_mov_b32_e32 v21, v82
	v_min_u32_e32 v54, 8, v86
	v_and_b32_e32 v96, 3, v81
	v_mov_b32_e32 v97, 0
	s_mov_b32 s11, exec_lo
	global_load_dword v18, v[20:21], off slc
	v_add_nc_u32_e32 v54, v96, v54
	v_mov_b32_e32 v96, 0
	v_cmpx_lt_u32_e32 4, v54
	s_cbranch_execz .LBB4_76
; %bb.75:                               ;   in Loop: Header=BB4_74 Depth=2
	global_load_dword v97, v[20:21], off offset:4 slc
.LBB4_76:                               ;   in Loop: Header=BB4_74 Depth=2
	s_or_b32 exec_lo, exec_lo, s11
	s_mov_b32 s11, exec_lo
	v_cmpx_lt_u64_e32 8, v[54:55]
	s_cbranch_execz .LBB4_73
; %bb.77:                               ;   in Loop: Header=BB4_74 Depth=2
	global_load_dword v96, v[20:21], off offset:8 slc
	s_branch .LBB4_73
.LBB4_78:                               ;   in Loop: Header=BB4_36 Depth=1
	s_inst_prefetch 0x2
	s_or_b32 exec_lo, exec_lo, s22
.LBB4_79:                               ;   in Loop: Header=BB4_36 Depth=1
	s_or_b32 exec_lo, exec_lo, s12
	v_and_b32_e32 v54, 0x7ffffff8, v22
	v_cmp_gt_i32_e64 s11, s18, v80
	v_cmp_eq_u64_e32 vcc_lo, 0x7ffffff8, v[54:55]
	s_and_b32 s11, vcc_lo, s11
	s_and_saveexec_b32 s12, s11
	s_cbranch_execz .LBB4_82
; %bb.80:                               ;   in Loop: Header=BB4_36 Depth=1
	s_waitcnt vmcnt(0) lgkmcnt(0)
	v_mul_lo_u32 v20, v85, s18
	v_ashrrev_i32_e32 v81, 31, v80
	v_mov_b32_e32 v18, v55
	s_mov_b32 s22, 0
	v_lshlrev_b64 v[81:82], 4, v[80:81]
	v_ashrrev_i32_e32 v21, 31, v20
	v_lshlrev_b64 v[20:21], 4, v[20:21]
	v_add_co_u32 v20, vcc_lo, v81, v20
	v_add_co_ci_u32_e64 v21, null, v82, v21, vcc_lo
	v_add_co_u32 v81, vcc_lo, v38, v20
	v_add_co_ci_u32_e64 v82, null, v39, v21, vcc_lo
.LBB4_81:                               ;   Parent Loop BB4_36 Depth=1
                                        ; =>  This Inner Loop Header: Depth=2
	v_mov_b32_e32 v20, v18
	v_add_nc_u32_e32 v80, v80, v1
	v_mov_b32_e32 v21, v19
	v_cmp_le_i32_e32 vcc_lo, s18, v80
	global_store_dwordx4 v[81:82], v[18:21], off
	v_add_co_u32 v81, s11, v81, v70
	v_add_co_ci_u32_e64 v82, null, v82, v71, s11
	s_or_b32 s22, vcc_lo, s22
	s_andn2_b32 exec_lo, exec_lo, s22
	s_cbranch_execnz .LBB4_81
.LBB4_82:                               ;   in Loop: Header=BB4_36 Depth=1
	s_or_b32 exec_lo, exec_lo, s12
	v_add_co_u32 v56, vcc_lo, v68, v26
	v_add_co_ci_u32_e64 v57, null, v69, v27, vcc_lo
	v_add_co_u32 v80, vcc_lo, v22, 1
	v_add_co_ci_u32_e64 v81, null, 0, v23, vcc_lo
	s_andn2_b32 vcc_lo, exec_lo, s21
	s_cbranch_vccnz .LBB4_356
; %bb.83:                               ;   in Loop: Header=BB4_36 Depth=1
	v_add_co_u32 v82, vcc_lo, v113, v56
	v_add_co_ci_u32_e64 v83, null, v114, v57, vcc_lo
	v_add_nc_u16 v58, v22, 1
	s_mov_b32 s22, 2
	s_branch .LBB4_85
.LBB4_84:                               ;   in Loop: Header=BB4_85 Depth=2
	s_or_b32 exec_lo, exec_lo, s12
	v_add_co_u32 v36, vcc_lo, v36, 1
	v_add_co_ci_u32_e64 v37, null, 0, v37, vcc_lo
	v_add_co_u32 v80, vcc_lo, v80, 1
	v_add_co_ci_u32_e64 v81, null, 0, v81, vcc_lo
	v_add_nc_u16 v58, v58, 1
	s_add_i32 s22, s22, 1
	s_cmp_eq_u32 s22, s14
	s_cbranch_scc1 .LBB4_356
.LBB4_85:                               ;   Parent Loop BB4_36 Depth=1
                                        ; =>  This Loop Header: Depth=2
                                        ;       Child Loop BB4_90 Depth 3
                                        ;       Child Loop BB4_109 Depth 3
	;; [unrolled: 1-line block ×3, first 2 shown]
                                        ;         Child Loop BB4_139 Depth 4
                                        ;       Child Loop BB4_345 Depth 3
                                        ;       Child Loop BB4_126 Depth 3
	s_sub_i32 s12, s14, s22
	s_lshl_b64 s[24:25], s[12:13], 2
	v_add_co_u32 v18, vcc_lo, v24, s24
	v_add_co_ci_u32_e64 v19, null, s25, v25, vcc_lo
	s_waitcnt vmcnt(0) lgkmcnt(0)
	flat_load_dword v20, v[18:19]
	s_and_saveexec_b32 s12, s5
	s_cbranch_execz .LBB4_101
; %bb.86:                               ;   in Loop: Header=BB4_85 Depth=2
	v_add_co_u32 v18, vcc_lo, v16, 1
	v_add_co_ci_u32_e64 v19, null, 0, v17, vcc_lo
	v_add_co_u32 v21, vcc_lo, v64, 8
	v_add_co_ci_u32_e64 v22, null, 0, v65, vcc_lo
	s_mov_b32 s23, exec_lo
	v_cmpx_lt_u64_e64 v[21:22], v[18:19]
	s_cbranch_execz .LBB4_98
; %bb.87:                               ;   in Loop: Header=BB4_85 Depth=2
	s_mov_b32 s24, 0
	s_mov_b32 s28, 0
	v_cmp_eq_u32_e32 vcc_lo, 0, v45
                                        ; implicit-def: $sgpr25
                                        ; implicit-def: $sgpr26
                                        ; implicit-def: $sgpr27
	s_branch .LBB4_90
.LBB4_88:                               ;   in Loop: Header=BB4_90 Depth=3
	s_or_b32 exec_lo, exec_lo, s43
	v_mov_b32_e32 v21, 0
	s_andn2_b32 s11, s27, exec_lo
	s_and_b32 s27, s41, exec_lo
	s_andn2_b32 s26, s26, exec_lo
	s_and_b32 s40, s40, exec_lo
	s_or_b32 s27, s11, s27
	s_or_b32 s26, s26, s40
.LBB4_89:                               ;   in Loop: Header=BB4_90 Depth=3
	s_or_b32 exec_lo, exec_lo, s29
	s_and_b32 s11, exec_lo, s26
	s_or_b32 s24, s11, s24
	s_andn2_b32 s11, s25, exec_lo
	s_and_b32 s25, s27, exec_lo
	s_or_b32 s25, s11, s25
	s_andn2_b32 exec_lo, exec_lo, s24
	s_cbranch_execz .LBB4_95
.LBB4_90:                               ;   Parent Loop BB4_36 Depth=1
                                        ;     Parent Loop BB4_85 Depth=2
                                        ; =>    This Inner Loop Header: Depth=3
	s_sleep 1
	s_waitcnt vmcnt(0) lgkmcnt(0)
	flat_load_dwordx2 v[64:65], v[52:53] glc dlc
	v_mov_b32_e32 v21, v45
	s_or_b32 s27, s27, exec_lo
	s_or_b32 s26, s26, exec_lo
                                        ; implicit-def: $vgpr17
	s_and_saveexec_b32 s29, vcc_lo
	s_cbranch_execz .LBB4_89
; %bb.91:                               ;   in Loop: Header=BB4_90 Depth=3
	s_add_i32 s28, s28, 1
	s_mov_b32 s40, -1
	s_cmpk_lg_i32 s28, 0x2710
	s_mov_b32 s41, -1
	s_cselect_b32 s42, -1, 0
	s_cmpk_eq_i32 s28, 0x2710
                                        ; implicit-def: $vgpr17
	s_cbranch_scc1 .LBB4_93
; %bb.92:                               ;   in Loop: Header=BB4_90 Depth=3
	s_and_saveexec_b32 s43, s42
	s_cbranch_execz .LBB4_88
	s_branch .LBB4_94
.LBB4_93:                               ;   in Loop: Header=BB4_90 Depth=3
	s_trap 2
	ds_read_b64 v[21:22], v0
	s_andn2_b32 s28, s42, exec_lo
	s_mov_b32 s41, 0
	s_waitcnt vmcnt(0) lgkmcnt(0)
	s_waitcnt_vscnt null, 0x0
	flat_load_dword v17, v[21:22] glc dlc
	s_waitcnt vmcnt(0) lgkmcnt(0)
	buffer_gl1_inv
	buffer_gl0_inv
	v_cmp_eq_u32_e64 s11, 0, v17
	s_and_b32 s11, s11, exec_lo
	s_or_b32 s42, s28, s11
	s_mov_b32 s28, 0
	s_and_saveexec_b32 s43, s42
	s_cbranch_execz .LBB4_88
.LBB4_94:                               ;   in Loop: Header=BB4_90 Depth=3
	s_waitcnt vmcnt(0) lgkmcnt(0)
	v_add_co_u32 v21, s11, v64, 8
	v_add_co_ci_u32_e64 v22, null, 0, v65, s11
	s_or_b32 s41, s41, exec_lo
	v_cmp_ge_u64_e64 s11, v[21:22], v[18:19]
	s_orn2_b32 s40, s11, exec_lo
	s_branch .LBB4_88
.LBB4_95:                               ;   in Loop: Header=BB4_85 Depth=2
	s_or_b32 exec_lo, exec_lo, s24
	s_xor_b32 s11, s25, -1
	s_and_saveexec_b32 s24, s11
	s_xor_b32 s11, exec_lo, s24
	s_cbranch_execz .LBB4_97
; %bb.96:                               ;   in Loop: Header=BB4_85 Depth=2
	v_mov_b32_e32 v21, 1
	s_waitcnt vmcnt(0) lgkmcnt(0)
	s_waitcnt_vscnt null, 0x0
	ds_write_b32 v0, v17
	s_trap 2
.LBB4_97:                               ;   in Loop: Header=BB4_85 Depth=2
	s_or_b32 exec_lo, exec_lo, s11
	v_mov_b32_e32 v45, v21
.LBB4_98:                               ;   in Loop: Header=BB4_85 Depth=2
	s_or_b32 exec_lo, exec_lo, s23
	s_and_saveexec_b32 s11, s6
	s_cbranch_execz .LBB4_100
; %bb.99:                               ;   in Loop: Header=BB4_85 Depth=2
	v_and_b32_e32 v54, 0x7ffffff8, v16
	v_and_b32_e32 v17, 7, v16
	v_cmp_eq_u64_e32 vcc_lo, 0x7ffffff8, v[54:55]
	v_mad_u64_u32 v[21:22], null, v17, 24, v[14:15]
	v_cndmask_b32_e64 v16, v47, s15, vcc_lo
	v_ashrrev_i32_e32 v17, 31, v16
	flat_store_dwordx2 v[21:22], v[16:17] offset:8
	s_waitcnt_vscnt null, 0x0
.LBB4_100:                              ;   in Loop: Header=BB4_85 Depth=2
	s_or_b32 exec_lo, exec_lo, s11
	v_mov_b32_e32 v16, v18
	v_mov_b32_e32 v17, v19
.LBB4_101:                              ;   in Loop: Header=BB4_85 Depth=2
	s_or_b32 exec_lo, exec_lo, s12
	s_and_saveexec_b32 s11, s7
	s_cbranch_execz .LBB4_120
; %bb.102:                              ;   in Loop: Header=BB4_85 Depth=2
	s_and_saveexec_b32 s12, s19
	s_xor_b32 s12, exec_lo, s12
	s_cbranch_execz .LBB4_117
; %bb.103:                              ;   in Loop: Header=BB4_85 Depth=2
	s_and_saveexec_b32 s23, s8
	s_cbranch_execz .LBB4_116
; %bb.104:                              ;   in Loop: Header=BB4_85 Depth=2
	s_mov_b32 s25, exec_lo
	s_mov_b32 s24, exec_lo
	v_mbcnt_lo_u32_b32 v18, s25, 0
	s_waitcnt vmcnt(0) lgkmcnt(0)
	s_waitcnt_vscnt null, 0x0
	buffer_gl1_inv
	buffer_gl0_inv
	v_cmpx_eq_u32_e32 0, v18
	s_cbranch_execz .LBB4_106
; %bb.105:                              ;   in Loop: Header=BB4_85 Depth=2
	s_bcnt1_i32_b32 s25, s25
	v_mov_b32_e32 v54, s25
	ds_add_u64 v0, v[54:55]
	s_trap 2
.LBB4_106:                              ;   in Loop: Header=BB4_85 Depth=2
	s_or_b32 exec_lo, exec_lo, s24
	s_trap 2
	ds_read_b64 v[18:19], v0
	s_waitcnt lgkmcnt(0)
	buffer_gl0_inv
	v_add_co_u32 v2, vcc_lo, v2, v102
	v_add_co_ci_u32_e64 v3, null, 0, v3, vcc_lo
	s_mov_b32 s24, exec_lo
	v_cmpx_lt_u64_e64 v[18:19], v[2:3]
	s_cbranch_execz .LBB4_115
; %bb.107:                              ;   in Loop: Header=BB4_85 Depth=2
	s_mov_b32 s25, 0
	s_mov_b32 s28, 0
                                        ; implicit-def: $sgpr26
                                        ; implicit-def: $sgpr27
	s_inst_prefetch 0x1
	s_branch .LBB4_109
	.p2align	6
.LBB4_108:                              ;   in Loop: Header=BB4_109 Depth=3
	s_or_b32 exec_lo, exec_lo, s40
	s_and_b32 s29, exec_lo, s41
	s_or_b32 s25, s29, s25
	s_andn2_b32 s26, s26, exec_lo
	s_and_b32 s29, s27, exec_lo
	s_or_b32 s26, s26, s29
	s_andn2_b32 exec_lo, exec_lo, s25
	s_cbranch_execz .LBB4_113
.LBB4_109:                              ;   Parent Loop BB4_36 Depth=1
                                        ;     Parent Loop BB4_85 Depth=2
                                        ; =>    This Inner Loop Header: Depth=3
	s_add_i32 s28, s28, 1
	s_cmpk_lg_i32 s28, 0x2710
	s_cselect_b32 s29, -1, 0
	s_and_b32 vcc_lo, exec_lo, s29
	s_cbranch_vccz .LBB4_111
; %bb.110:                              ;   in Loop: Header=BB4_109 Depth=3
	s_mov_b32 s41, -1
	s_or_b32 s27, s27, exec_lo
	s_and_saveexec_b32 s40, s29
	s_cbranch_execz .LBB4_108
	s_branch .LBB4_112
	.p2align	6
.LBB4_111:                              ;   in Loop: Header=BB4_109 Depth=3
	s_trap 2
	ds_read_b64 v[18:19], v0
	s_andn2_b32 s29, s29, exec_lo
	s_mov_b32 s28, 0
	s_waitcnt lgkmcnt(0)
	flat_load_dword v18, v[18:19] glc dlc
	s_waitcnt vmcnt(0) lgkmcnt(0)
	buffer_gl1_inv
	buffer_gl0_inv
	v_cmp_eq_u32_e32 vcc_lo, 0, v18
	s_and_b32 s40, vcc_lo, exec_lo
	s_or_b32 s29, s29, s40
	s_mov_b32 s41, -1
	s_or_b32 s27, s27, exec_lo
	s_and_saveexec_b32 s40, s29
	s_cbranch_execz .LBB4_108
.LBB4_112:                              ;   in Loop: Header=BB4_109 Depth=3
	s_sleep 1
	s_trap 2
	ds_read_b64 v[18:19], v0
	s_waitcnt lgkmcnt(0)
	buffer_gl0_inv
	s_andn2_b32 s27, s27, exec_lo
	v_cmp_ge_u64_e32 vcc_lo, v[18:19], v[2:3]
	s_orn2_b32 s41, vcc_lo, exec_lo
	s_branch .LBB4_108
.LBB4_113:                              ;   in Loop: Header=BB4_85 Depth=2
	s_inst_prefetch 0x2
	s_or_b32 exec_lo, exec_lo, s25
	s_and_saveexec_b32 s25, s26
	s_xor_b32 s25, exec_lo, s25
	s_cbranch_execz .LBB4_115
; %bb.114:                              ;   in Loop: Header=BB4_85 Depth=2
	ds_write_b32 v0, v119
	s_trap 2
.LBB4_115:                              ;   in Loop: Header=BB4_85 Depth=2
	s_or_b32 exec_lo, exec_lo, s24
	;;#ASMSTART
	s_wakeup
	;;#ASMEND
.LBB4_116:                              ;   in Loop: Header=BB4_85 Depth=2
	s_or_b32 exec_lo, exec_lo, s23
.LBB4_117:                              ;   in Loop: Header=BB4_85 Depth=2
	s_andn2_saveexec_b32 s12, s12
	s_cbranch_execz .LBB4_119
; %bb.118:                              ;   in Loop: Header=BB4_85 Depth=2
	s_waitcnt vmcnt(0) lgkmcnt(0)
	s_waitcnt_vscnt null, 0x0
	buffer_gl1_inv
	buffer_gl0_inv
	s_barrier
.LBB4_119:                              ;   in Loop: Header=BB4_85 Depth=2
	s_or_b32 exec_lo, exec_lo, s12
.LBB4_120:                              ;   in Loop: Header=BB4_85 Depth=2
	s_or_b32 exec_lo, exec_lo, s11
	v_add_nc_u32_e32 v19, 1, v80
	v_mov_b32_e32 v84, v4
	s_and_saveexec_b32 s12, s10
	s_cbranch_execnz .LBB4_127
; %bb.121:                              ;   in Loop: Header=BB4_85 Depth=2
	s_or_b32 exec_lo, exec_lo, s12
	s_and_saveexec_b32 s11, s7
	s_cbranch_execnz .LBB4_338
.LBB4_122:                              ;   in Loop: Header=BB4_85 Depth=2
	s_or_b32 exec_lo, exec_lo, s11
	s_and_saveexec_b32 s11, s9
	s_cbranch_execz .LBB4_124
.LBB4_123:                              ;   in Loop: Header=BB4_85 Depth=2
	v_add_co_u32 v48, vcc_lo, v48, 1
	v_add_co_ci_u32_e64 v49, null, 0, v49, vcc_lo
	s_waitcnt vmcnt(0) lgkmcnt(0)
	s_waitcnt_vscnt null, 0x0
	flat_store_dwordx2 v[50:51], v[48:49]
.LBB4_124:                              ;   in Loop: Header=BB4_85 Depth=2
	s_or_b32 exec_lo, exec_lo, s11
	v_and_b32_e32 v54, 0x7ffffff8, v80
	v_cmp_gt_i32_e64 s11, s18, v84
	v_cmp_eq_u64_e32 vcc_lo, 0x7ffffff8, v[54:55]
	s_and_b32 s11, vcc_lo, s11
	s_and_saveexec_b32 s12, s11
	s_cbranch_execz .LBB4_84
; %bb.125:                              ;   in Loop: Header=BB4_85 Depth=2
	v_and_b32_e32 v18, 7, v58
	v_ashrrev_i32_e32 v85, 31, v84
	s_mov_b32 s23, 0
	s_waitcnt vmcnt(0) lgkmcnt(0)
	v_mul_lo_u32 v20, s18, v18
	v_lshlrev_b64 v[22:23], 4, v[84:85]
	v_mov_b32_e32 v18, v55
	v_ashrrev_i32_e32 v21, 31, v20
	v_lshlrev_b64 v[20:21], 4, v[20:21]
	v_add_co_u32 v20, vcc_lo, v22, v20
	v_add_co_ci_u32_e64 v21, null, v23, v21, vcc_lo
	v_add_co_u32 v22, vcc_lo, v38, v20
	v_add_co_ci_u32_e64 v23, null, v39, v21, vcc_lo
.LBB4_126:                              ;   Parent Loop BB4_36 Depth=1
                                        ;     Parent Loop BB4_85 Depth=2
                                        ; =>    This Inner Loop Header: Depth=3
	v_mov_b32_e32 v20, v18
	v_add_nc_u32_e32 v84, v84, v1
	v_mov_b32_e32 v21, v19
	v_cmp_le_i32_e32 vcc_lo, s18, v84
	global_store_dwordx4 v[22:23], v[18:21], off
	v_add_co_u32 v22, s11, v22, v70
	v_add_co_ci_u32_e64 v23, null, v23, v71, s11
	s_or_b32 s23, vcc_lo, s23
	s_andn2_b32 exec_lo, exec_lo, s23
	s_cbranch_execnz .LBB4_126
	s_branch .LBB4_84
.LBB4_127:                              ;   in Loop: Header=BB4_85 Depth=2
	v_and_b32_e32 v18, 7, v36
	v_and_b32_e32 v22, 7, v80
	s_waitcnt vmcnt(0) lgkmcnt(0)
	v_mad_u64_u32 v[86:87], null, v30, v20, v[82:83]
	v_mul_lo_u32 v23, v100, v20
	v_mul_lo_u32 v21, v18, s18
	v_ashrrev_i32_e32 v18, 31, v20
	v_mul_lo_u32 v84, v22, s18
	v_add_nc_u32_e32 v59, 1, v36
	v_mov_b32_e32 v60, v46
	s_mov_b32 s23, 0
	v_mul_lo_u32 v18, v30, v18
	v_ashrrev_i32_e32 v22, 31, v21
	v_ashrrev_i32_e32 v85, 31, v84
	v_lshlrev_b64 v[20:21], 4, v[21:22]
	v_add3_u32 v87, v23, v87, v18
	v_lshlrev_b64 v[22:23], 4, v[84:85]
	v_mov_b32_e32 v84, v4
	v_add_co_u32 v61, vcc_lo, v34, v20
	v_add_co_ci_u32_e64 v62, null, v35, v21, vcc_lo
	v_add_co_u32 v63, vcc_lo, v38, v22
	v_add_co_ci_u32_e64 v72, null, v39, v23, vcc_lo
	s_branch .LBB4_131
.LBB4_128:                              ;   in Loop: Header=BB4_131 Depth=3
	s_or_b32 exec_lo, exec_lo, s11
	v_lshrrev_b32_e32 v73, 21, v73
	v_min_i32_e32 v74, 31, v54
	v_cmp_gt_i32_e32 vcc_lo, 32, v54
	v_and_b32_sdwa v22, v22, v41 dst_sel:DWORD dst_unused:UNUSED_PAD src0_sel:BYTE_3 src1_sel:DWORD
	v_lshlrev_b32_e32 v74, 2, v74
	v_cndmask_b32_e32 v73, 3, v73, vcc_lo
	v_and_b32_e32 v74, 0xfc, v74
	v_and_b32_e32 v75, 3, v73
	v_or_b32_e32 v54, v54, v73
	v_or3_b32 v22, v22, v74, v75
	v_cmp_ne_u32_e32 vcc_lo, 0, v54
	v_lshlrev_b32_e32 v22, 8, v22
	v_cndmask_b32_e32 v54, 0, v22, vcc_lo
.LBB4_129:                              ;   in Loop: Header=BB4_131 Depth=3
	s_or_b32 exec_lo, exec_lo, s25
.LBB4_130:                              ;   in Loop: Header=BB4_131 Depth=3
	s_or_b32 exec_lo, exec_lo, s24
	v_sub_nc_u32_e32 v60, v60, v103
	v_add_co_u32 v86, vcc_lo, v86, v103
	v_or_b32_e32 v18, v21, v18
	v_or_b32_sdwa v20, v20, v23 dst_sel:WORD_1 dst_unused:UNUSED_PAD src0_sel:DWORD src1_sel:DWORD
	v_or_b32_e32 v21, v98, v85
	v_or_b32_sdwa v54, v54, v99 dst_sel:WORD_1 dst_unused:UNUSED_PAD src0_sel:DWORD src1_sel:DWORD
	v_add_co_ci_u32_e64 v87, null, 0, v87, vcc_lo
	v_add_co_u32 v22, vcc_lo, v63, v96
	v_add_co_ci_u32_e64 v23, null, v72, v97, vcc_lo
	v_cmp_gt_i32_e32 vcc_lo, 1, v60
	v_or3_b32 v18, v18, v20, 0
	v_or3_b32 v20, v21, v54, 0
	v_mov_b32_e32 v21, v19
	v_add_nc_u32_e32 v84, v84, v1
	s_or_b32 s23, vcc_lo, s23
	global_store_dwordx4 v[22:23], v[18:21], off
	s_andn2_b32 exec_lo, exec_lo, s23
	s_cbranch_execz .LBB4_337
.LBB4_131:                              ;   Parent Loop BB4_36 Depth=1
                                        ;     Parent Loop BB4_85 Depth=2
                                        ; =>    This Loop Header: Depth=3
                                        ;         Child Loop BB4_139 Depth 4
	v_and_b32_e32 v20, -4, v86
	v_mov_b32_e32 v21, v87
	v_min_u32_e32 v22, 8, v60
	v_and_b32_e32 v23, 3, v86
	v_mov_b32_e32 v73, 0
	v_mov_b32_e32 v74, 0
	global_load_dword v18, v[20:21], off slc
	s_mov_b32 s11, exec_lo
	v_add_nc_u32_e32 v54, v23, v22
	v_cmpx_lt_u32_e32 4, v54
	s_cbranch_execz .LBB4_133
; %bb.132:                              ;   in Loop: Header=BB4_131 Depth=3
	global_load_dword v74, v[20:21], off offset:4 slc
.LBB4_133:                              ;   in Loop: Header=BB4_131 Depth=3
	s_or_b32 exec_lo, exec_lo, s11
	s_mov_b32 s11, exec_lo
	v_cmpx_lt_u64_e32 8, v[54:55]
	s_cbranch_execz .LBB4_135
; %bb.134:                              ;   in Loop: Header=BB4_131 Depth=3
	global_load_dword v73, v[20:21], off offset:8 slc
.LBB4_135:                              ;   in Loop: Header=BB4_131 Depth=3
	s_or_b32 exec_lo, exec_lo, s11
	v_ashrrev_i32_e32 v85, 31, v84
	s_mov_b32 s24, exec_lo
	v_lshlrev_b64 v[96:97], 4, v[84:85]
	v_add_co_u32 v98, vcc_lo, v61, v96
	v_add_co_ci_u32_e64 v99, null, v62, v97, vcc_lo
	global_load_dwordx4 v[20:23], v[98:99], off slc
	v_cmpx_eq_u32_e32 0, v45
	s_cbranch_execz .LBB4_147
; %bb.136:                              ;   in Loop: Header=BB4_131 Depth=3
	s_waitcnt vmcnt(0)
	v_cmp_ne_u32_e32 vcc_lo, v59, v21
	v_cmp_ne_u32_e64 s11, v59, v23
	v_mov_b32_e32 v45, 0
	s_or_b32 s11, vcc_lo, s11
	s_and_saveexec_b32 s25, s11
	s_cbranch_execz .LBB4_146
; %bb.137:                              ;   in Loop: Header=BB4_131 Depth=3
	s_mov_b32 s29, 1
	s_mov_b32 s27, 0
                                        ; implicit-def: $sgpr26
                                        ; implicit-def: $sgpr28
	s_inst_prefetch 0x1
	s_branch .LBB4_139
	.p2align	6
.LBB4_138:                              ;   in Loop: Header=BB4_139 Depth=4
	s_or_b32 exec_lo, exec_lo, s41
	s_and_b32 s11, exec_lo, s11
	s_or_b32 s27, s11, s27
	s_andn2_b32 s11, s26, exec_lo
	s_and_b32 s26, s28, exec_lo
	s_or_b32 s26, s11, s26
	s_andn2_b32 exec_lo, exec_lo, s27
	s_cbranch_execz .LBB4_143
.LBB4_139:                              ;   Parent Loop BB4_36 Depth=1
                                        ;     Parent Loop BB4_85 Depth=2
                                        ;       Parent Loop BB4_131 Depth=3
                                        ; =>      This Inner Loop Header: Depth=4
	global_load_dwordx4 v[20:23], v[98:99], off slc
	s_add_i32 s29, s29, 1
	s_mov_b32 s11, -1
	s_cmpk_lg_i32 s29, 0x2710
	s_mov_b32 s40, -1
                                        ; implicit-def: $vgpr54
	s_cbranch_scc0 .LBB4_141
; %bb.140:                              ;   in Loop: Header=BB4_139 Depth=4
	s_or_b32 s28, s28, exec_lo
	s_and_saveexec_b32 s41, s40
	s_cbranch_execz .LBB4_138
	s_branch .LBB4_142
	.p2align	6
.LBB4_141:                              ;   in Loop: Header=BB4_139 Depth=4
	s_trap 2
	ds_read_b64 v[75:76], v0
	s_mov_b32 s29, 0
	s_waitcnt vmcnt(0) lgkmcnt(0)
	s_waitcnt_vscnt null, 0x0
	flat_load_dword v54, v[75:76] glc dlc
	s_waitcnt vmcnt(0) lgkmcnt(0)
	buffer_gl1_inv
	buffer_gl0_inv
	v_cmp_eq_u32_e32 vcc_lo, 0, v54
	s_orn2_b32 s40, vcc_lo, exec_lo
	s_or_b32 s28, s28, exec_lo
	s_and_saveexec_b32 s41, s40
	s_cbranch_execz .LBB4_138
.LBB4_142:                              ;   in Loop: Header=BB4_139 Depth=4
	s_waitcnt vmcnt(0)
	v_cmp_eq_u32_e32 vcc_lo, v59, v21
	v_cmp_eq_u32_e64 s11, v59, v23
	s_andn2_b32 s28, s28, exec_lo
	s_and_b32 s11, vcc_lo, s11
	s_orn2_b32 s11, s11, exec_lo
	s_branch .LBB4_138
.LBB4_143:                              ;   in Loop: Header=BB4_131 Depth=3
	s_inst_prefetch 0x2
	s_or_b32 exec_lo, exec_lo, s27
	v_mov_b32_e32 v45, 0
	s_and_saveexec_b32 s11, s26
	s_xor_b32 s11, exec_lo, s11
	s_cbranch_execz .LBB4_145
; %bb.144:                              ;   in Loop: Header=BB4_131 Depth=3
	v_mov_b32_e32 v45, 1
	s_waitcnt vmcnt(0)
	s_waitcnt_vscnt null, 0x0
	ds_write_b32 v0, v54
	s_trap 2
.LBB4_145:                              ;   in Loop: Header=BB4_131 Depth=3
	s_or_b32 exec_lo, exec_lo, s11
.LBB4_146:                              ;   in Loop: Header=BB4_131 Depth=3
	s_or_b32 exec_lo, exec_lo, s25
.LBB4_147:                              ;   in Loop: Header=BB4_131 Depth=3
	s_or_b32 exec_lo, exec_lo, s24
	s_waitcnt vmcnt(0)
	v_cmp_gt_i16_sdwa s24, v20, v40 src0_sel:BYTE_0 src1_sel:DWORD
	s_mov_b32 s11, 0
	s_and_saveexec_b32 s25, s24
	s_xor_b32 s24, exec_lo, s25
	s_cbranch_execnz .LBB4_273
; %bb.148:                              ;   in Loop: Header=BB4_131 Depth=3
	s_or_saveexec_b32 s24, s24
	v_mov_b32_e32 v21, 0x7f800001
	s_xor_b32 exec_lo, exec_lo, s24
	s_cbranch_execnz .LBB4_276
.LBB4_149:                              ;   in Loop: Header=BB4_131 Depth=3
	s_or_b32 exec_lo, exec_lo, s24
	s_and_saveexec_b32 s24, s11
	s_cbranch_execz .LBB4_151
.LBB4_150:                              ;   in Loop: Header=BB4_131 Depth=3
	v_and_b32_e32 v21, 3, v20
	v_bfe_u32 v85, v20, 2, 5
	v_lshlrev_b32_e32 v98, 24, v20
	v_ffbh_u32_e32 v23, v21
	v_cmp_eq_u32_e32 vcc_lo, 0, v85
	v_min_u32_e32 v23, 32, v23
	v_subrev_nc_u32_e32 v54, 29, v23
	v_sub_nc_u32_e32 v23, 30, v23
	v_lshlrev_b32_e32 v54, v54, v20
	v_cndmask_b32_e32 v23, v85, v23, vcc_lo
	v_and_b32_e32 v54, 3, v54
	v_lshl_add_u32 v23, v23, 23, 0x37800000
	v_cndmask_b32_e32 v21, v21, v54, vcc_lo
	v_and_b32_e32 v54, 0x80000000, v98
	v_lshlrev_b32_e32 v21, 21, v21
	v_or3_b32 v21, v54, v23, v21
.LBB4_151:                              ;   in Loop: Header=BB4_131 Depth=3
	s_or_b32 exec_lo, exec_lo, s24
	v_lshlrev_b32_e32 v54, 3, v86
	s_mov_b32 s11, 0
	v_alignbit_b32 v85, v74, v18, v54
	v_cmp_gt_i16_sdwa s24, v85, v40 src0_sel:BYTE_0 src1_sel:DWORD
	s_and_saveexec_b32 s25, s24
	s_xor_b32 s24, exec_lo, s25
	s_cbranch_execnz .LBB4_277
; %bb.152:                              ;   in Loop: Header=BB4_131 Depth=3
	s_or_saveexec_b32 s24, s24
	v_mov_b32_e32 v18, 0x7f800001
	s_xor_b32 exec_lo, exec_lo, s24
	s_cbranch_execnz .LBB4_280
.LBB4_153:                              ;   in Loop: Header=BB4_131 Depth=3
	s_or_b32 exec_lo, exec_lo, s24
	s_and_saveexec_b32 s24, s11
	s_cbranch_execz .LBB4_155
.LBB4_154:                              ;   in Loop: Header=BB4_131 Depth=3
	v_and_b32_e32 v18, 3, v85
	v_bfe_u32 v99, v85, 2, 5
	v_lshlrev_b32_e32 v75, 24, v85
	v_ffbh_u32_e32 v23, v18
	v_cmp_eq_u32_e32 vcc_lo, 0, v99
	v_min_u32_e32 v23, 32, v23
	v_subrev_nc_u32_e32 v98, 29, v23
	v_sub_nc_u32_e32 v23, 30, v23
	v_lshlrev_b32_e32 v98, v98, v85
	v_cndmask_b32_e32 v23, v99, v23, vcc_lo
	v_and_b32_e32 v98, 3, v98
	v_lshl_add_u32 v23, v23, 23, 0x37800000
	v_cndmask_b32_e32 v18, v18, v98, vcc_lo
	v_and_b32_e32 v98, 0x80000000, v75
	v_lshlrev_b32_e32 v18, 21, v18
	v_or3_b32 v18, v98, v23, v18
.LBB4_155:                              ;   in Loop: Header=BB4_131 Depth=3
	s_or_b32 exec_lo, exec_lo, s24
	v_mul_f32_e32 v21, v21, v18
	v_and_b32_e32 v18, 0x7f800000, v21
	v_cmp_ne_u32_e32 vcc_lo, 0x7f800000, v18
	v_mov_b32_e32 v18, 0x80
	s_and_saveexec_b32 s24, vcc_lo
	s_cbranch_execz .LBB4_163
; %bb.156:                              ;   in Loop: Header=BB4_131 Depth=3
	v_mov_b32_e32 v18, 0
	s_mov_b32 s25, exec_lo
	v_cmpx_ne_u32_e32 0, v21
	s_cbranch_execz .LBB4_162
; %bb.157:                              ;   in Loop: Header=BB4_131 Depth=3
	v_bfe_u32 v18, v21, 23, 8
	v_and_b32_e32 v23, 0x7fffff, v21
	v_sub_nc_u32_e32 v98, 0x70, v18
	v_cmp_gt_u32_e32 vcc_lo, 0x71, v18
	v_or_b32_e32 v99, 0x800000, v23
	v_cndmask_b32_e32 v98, 0, v98, vcc_lo
	v_cmp_eq_u32_e32 vcc_lo, 0, v18
	v_add_nc_u32_e32 v18, 0xffffff91, v18
	v_cndmask_b32_e64 v98, v98, 0x6f, vcc_lo
	v_cndmask_b32_e32 v23, v99, v23, vcc_lo
	v_cndmask_b32_e64 v18, v18, 0xffffff92, vcc_lo
	v_lshl_add_u32 v99, 0x200000, v98, -1
	v_lshrrev_b32_e32 v75, v98, v23
	v_lshlrev_b32_e64 v77, v98, 0x100000
	v_add_nc_u32_e32 v98, v98, v18
	v_and_b32_e32 v23, v99, v23
	v_bfe_u32 v76, v75, 21, 1
	v_cmp_eq_u32_e64 s11, v23, v77
	v_add_nc_u32_e32 v99, -1, v76
	v_cndmask_b32_e64 v23, 0, v99, s11
	v_lshrrev_b32_e32 v99, 23, v75
	s_mov_b32 s11, exec_lo
	v_add_nc_u32_e32 v23, v23, v75
	v_xor_b32_e32 v99, 1, v99
	v_and_b32_e32 v18, 0x1fffff, v23
	v_add_nc_u32_e32 v23, v18, v75
                                        ; implicit-def: $vgpr18
	v_cmpx_ne_u32_e64 v98, v99
	s_xor_b32 s11, exec_lo, s11
; %bb.158:                              ;   in Loop: Header=BB4_131 Depth=3
	v_cmp_lt_u32_e32 vcc_lo, 0xffffff, v23
	v_sub_nc_u32_e32 v18, v98, v99
	v_cndmask_b32_e64 v98, 0, 1, vcc_lo
	v_add_co_ci_u32_e64 v18, null, 0, v18, vcc_lo
	v_lshrrev_b32_e32 v23, v98, v23
; %bb.159:                              ;   in Loop: Header=BB4_131 Depth=3
	s_andn2_saveexec_b32 s11, s11
; %bb.160:                              ;   in Loop: Header=BB4_131 Depth=3
	v_bfe_u32 v18, v23, 23, 1
; %bb.161:                              ;   in Loop: Header=BB4_131 Depth=3
	s_or_b32 exec_lo, exec_lo, s11
	v_lshrrev_b32_e32 v23, 21, v23
	v_min_i32_e32 v98, 31, v18
	v_cmp_gt_i32_e32 vcc_lo, 32, v18
	v_and_b32_sdwa v21, v21, v41 dst_sel:DWORD dst_unused:UNUSED_PAD src0_sel:BYTE_3 src1_sel:DWORD
	v_lshlrev_b32_e32 v98, 2, v98
	v_cndmask_b32_e32 v23, 3, v23, vcc_lo
	v_and_b32_e32 v98, 0xfc, v98
	v_and_b32_e32 v99, 3, v23
	v_or_b32_e32 v18, v18, v23
	v_or3_b32 v21, v98, v21, v99
	v_cmp_ne_u32_e32 vcc_lo, 0, v18
	v_cndmask_b32_e32 v18, 0, v21, vcc_lo
.LBB4_162:                              ;   in Loop: Header=BB4_131 Depth=3
	s_or_b32 exec_lo, exec_lo, s25
.LBB4_163:                              ;   in Loop: Header=BB4_131 Depth=3
	s_or_b32 exec_lo, exec_lo, s24
	v_cmp_gt_i16_sdwa s24, v20, v40 src0_sel:BYTE_1 src1_sel:DWORD
	s_mov_b32 s11, 0
	s_and_saveexec_b32 s25, s24
	s_xor_b32 s24, exec_lo, s25
	s_cbranch_execnz .LBB4_281
; %bb.164:                              ;   in Loop: Header=BB4_131 Depth=3
	s_or_saveexec_b32 s24, s24
	v_mov_b32_e32 v21, 0x7f800001
	s_xor_b32 exec_lo, exec_lo, s24
	s_cbranch_execnz .LBB4_284
.LBB4_165:                              ;   in Loop: Header=BB4_131 Depth=3
	s_or_b32 exec_lo, exec_lo, s24
	s_and_saveexec_b32 s24, s11
	s_cbranch_execz .LBB4_167
.LBB4_166:                              ;   in Loop: Header=BB4_131 Depth=3
	v_and_b32_sdwa v21, v42, v20 dst_sel:DWORD dst_unused:UNUSED_PAD src0_sel:DWORD src1_sel:BYTE_1
	v_and_b32_e32 v23, 3, v21
	v_bfe_u32 v75, v21, 2, 5
	v_ffbh_u32_e32 v98, v23
	v_cmp_eq_u32_e32 vcc_lo, 0, v75
	v_min_u32_e32 v98, 32, v98
	v_subrev_nc_u32_e32 v99, 29, v98
	v_sub_nc_u32_e32 v98, 30, v98
	v_lshlrev_b32_e32 v21, v99, v21
	v_lshlrev_b32_sdwa v99, v43, v20 dst_sel:DWORD dst_unused:UNUSED_PAD src0_sel:DWORD src1_sel:BYTE_1
	v_cndmask_b32_e32 v98, v75, v98, vcc_lo
	v_and_b32_e32 v21, 3, v21
	v_lshl_add_u32 v98, v98, 23, 0x37800000
	v_cndmask_b32_e32 v21, v23, v21, vcc_lo
	v_and_b32_e32 v23, 0x80000000, v99
	v_lshlrev_b32_e32 v21, 21, v21
	v_or3_b32 v21, v23, v98, v21
.LBB4_167:                              ;   in Loop: Header=BB4_131 Depth=3
	s_or_b32 exec_lo, exec_lo, s24
	v_cmp_gt_i16_sdwa s24, v85, v40 src0_sel:BYTE_1 src1_sel:DWORD
	s_mov_b32 s11, 0
	s_and_saveexec_b32 s25, s24
	s_xor_b32 s24, exec_lo, s25
	s_cbranch_execnz .LBB4_285
; %bb.168:                              ;   in Loop: Header=BB4_131 Depth=3
	s_or_saveexec_b32 s24, s24
	v_mov_b32_e32 v23, 0x7f800001
	s_xor_b32 exec_lo, exec_lo, s24
	s_cbranch_execnz .LBB4_288
.LBB4_169:                              ;   in Loop: Header=BB4_131 Depth=3
	s_or_b32 exec_lo, exec_lo, s24
	s_and_saveexec_b32 s24, s11
	s_cbranch_execz .LBB4_171
.LBB4_170:                              ;   in Loop: Header=BB4_131 Depth=3
	v_and_b32_sdwa v23, v42, v85 dst_sel:DWORD dst_unused:UNUSED_PAD src0_sel:DWORD src1_sel:BYTE_1
	v_and_b32_e32 v98, 3, v23
	v_bfe_u32 v76, v23, 2, 5
	v_ffbh_u32_e32 v99, v98
	v_cmp_eq_u32_e32 vcc_lo, 0, v76
	v_min_u32_e32 v99, 32, v99
	v_subrev_nc_u32_e32 v75, 29, v99
	v_sub_nc_u32_e32 v99, 30, v99
	v_lshlrev_b32_e32 v23, v75, v23
	v_lshlrev_b32_sdwa v75, v43, v85 dst_sel:DWORD dst_unused:UNUSED_PAD src0_sel:DWORD src1_sel:BYTE_1
	v_cndmask_b32_e32 v99, v76, v99, vcc_lo
	v_and_b32_e32 v23, 3, v23
	v_lshl_add_u32 v99, v99, 23, 0x37800000
	v_cndmask_b32_e32 v23, v98, v23, vcc_lo
	v_and_b32_e32 v98, 0x80000000, v75
	v_lshlrev_b32_e32 v23, 21, v23
	v_or3_b32 v23, v98, v99, v23
.LBB4_171:                              ;   in Loop: Header=BB4_131 Depth=3
	s_or_b32 exec_lo, exec_lo, s24
	v_mul_f32_e32 v23, v21, v23
	v_and_b32_e32 v21, 0x7f800000, v23
	v_cmp_ne_u32_e32 vcc_lo, 0x7f800000, v21
	v_mov_b32_e32 v21, 0x8000
	s_and_saveexec_b32 s24, vcc_lo
	s_cbranch_execz .LBB4_179
; %bb.172:                              ;   in Loop: Header=BB4_131 Depth=3
	v_mov_b32_e32 v21, 0
	s_mov_b32 s25, exec_lo
	v_cmpx_ne_u32_e32 0, v23
	s_cbranch_execz .LBB4_178
; %bb.173:                              ;   in Loop: Header=BB4_131 Depth=3
	v_bfe_u32 v21, v23, 23, 8
	v_and_b32_e32 v98, 0x7fffff, v23
	v_sub_nc_u32_e32 v99, 0x70, v21
	v_cmp_gt_u32_e32 vcc_lo, 0x71, v21
	v_or_b32_e32 v75, 0x800000, v98
	v_cndmask_b32_e32 v99, 0, v99, vcc_lo
	v_cmp_eq_u32_e32 vcc_lo, 0, v21
	v_add_nc_u32_e32 v21, 0xffffff91, v21
	v_cndmask_b32_e64 v99, v99, 0x6f, vcc_lo
	v_cndmask_b32_e32 v98, v75, v98, vcc_lo
	v_cndmask_b32_e64 v21, v21, 0xffffff92, vcc_lo
	v_lshl_add_u32 v75, 0x200000, v99, -1
	v_lshrrev_b32_e32 v76, v99, v98
	v_lshlrev_b32_e64 v78, v99, 0x100000
	v_add_nc_u32_e32 v99, v99, v21
	v_and_b32_e32 v98, v75, v98
	v_bfe_u32 v77, v76, 21, 1
	v_cmp_eq_u32_e64 s11, v98, v78
	v_add_nc_u32_e32 v75, -1, v77
	v_cndmask_b32_e64 v98, 0, v75, s11
	v_lshrrev_b32_e32 v75, 23, v76
	s_mov_b32 s11, exec_lo
	v_add_nc_u32_e32 v98, v98, v76
	v_xor_b32_e32 v75, 1, v75
	v_and_b32_e32 v21, 0x1fffff, v98
	v_add_nc_u32_e32 v98, v21, v76
                                        ; implicit-def: $vgpr21
	v_cmpx_ne_u32_e64 v99, v75
	s_xor_b32 s11, exec_lo, s11
; %bb.174:                              ;   in Loop: Header=BB4_131 Depth=3
	v_cmp_lt_u32_e32 vcc_lo, 0xffffff, v98
	v_sub_nc_u32_e32 v21, v99, v75
	v_cndmask_b32_e64 v99, 0, 1, vcc_lo
	v_add_co_ci_u32_e64 v21, null, 0, v21, vcc_lo
	v_lshrrev_b32_e32 v98, v99, v98
; %bb.175:                              ;   in Loop: Header=BB4_131 Depth=3
	s_andn2_saveexec_b32 s11, s11
; %bb.176:                              ;   in Loop: Header=BB4_131 Depth=3
	v_bfe_u32 v21, v98, 23, 1
; %bb.177:                              ;   in Loop: Header=BB4_131 Depth=3
	s_or_b32 exec_lo, exec_lo, s11
	v_lshrrev_b32_e32 v98, 21, v98
	v_min_i32_e32 v99, 31, v21
	v_cmp_gt_i32_e32 vcc_lo, 32, v21
	v_and_b32_sdwa v23, v23, v41 dst_sel:DWORD dst_unused:UNUSED_PAD src0_sel:BYTE_3 src1_sel:DWORD
	v_lshlrev_b32_e32 v99, 2, v99
	v_cndmask_b32_e32 v98, 3, v98, vcc_lo
	v_and_b32_e32 v99, 0xfc, v99
	v_and_b32_e32 v75, 3, v98
	v_or_b32_e32 v21, v21, v98
	v_or3_b32 v23, v23, v99, v75
	v_cmp_ne_u32_e32 vcc_lo, 0, v21
	v_lshlrev_b32_e32 v23, 8, v23
	v_cndmask_b32_e32 v21, 0, v23, vcc_lo
.LBB4_178:                              ;   in Loop: Header=BB4_131 Depth=3
	s_or_b32 exec_lo, exec_lo, s25
.LBB4_179:                              ;   in Loop: Header=BB4_131 Depth=3
	s_or_b32 exec_lo, exec_lo, s24
	v_and_b32_sdwa v98, v20, v44 dst_sel:DWORD dst_unused:UNUSED_PAD src0_sel:WORD_1 src1_sel:DWORD
	s_mov_b32 s11, 0
	s_mov_b32 s24, exec_lo
	v_cmpx_lt_i16_e32 0x7f, v98
	s_xor_b32 s24, exec_lo, s24
	s_cbranch_execnz .LBB4_289
; %bb.180:                              ;   in Loop: Header=BB4_131 Depth=3
	s_or_saveexec_b32 s24, s24
	v_mov_b32_e32 v23, 0x7f800001
	s_xor_b32 exec_lo, exec_lo, s24
	s_cbranch_execnz .LBB4_292
.LBB4_181:                              ;   in Loop: Header=BB4_131 Depth=3
	s_or_b32 exec_lo, exec_lo, s24
	s_and_saveexec_b32 s24, s11
	s_cbranch_execz .LBB4_183
.LBB4_182:                              ;   in Loop: Header=BB4_131 Depth=3
	v_bfe_u32 v23, v20, 16, 2
	v_bfe_u32 v75, v20, 18, 5
	v_lshlrev_b32_e32 v76, 8, v20
	v_ffbh_u32_e32 v98, v23
	v_cmp_eq_u32_e32 vcc_lo, 0, v75
	v_min_u32_e32 v98, 32, v98
	v_subrev_nc_u32_e32 v99, 29, v98
	v_sub_nc_u32_e32 v98, 30, v98
	v_lshlrev_b32_sdwa v99, v99, v20 dst_sel:DWORD dst_unused:UNUSED_PAD src0_sel:DWORD src1_sel:WORD_1
	v_cndmask_b32_e32 v98, v75, v98, vcc_lo
	v_and_b32_e32 v99, 3, v99
	v_lshl_add_u32 v98, v98, 23, 0x37800000
	v_cndmask_b32_e32 v23, v23, v99, vcc_lo
	v_and_b32_e32 v99, 0x80000000, v76
	v_lshlrev_b32_e32 v23, 21, v23
	v_or3_b32 v23, v99, v98, v23
.LBB4_183:                              ;   in Loop: Header=BB4_131 Depth=3
	s_or_b32 exec_lo, exec_lo, s24
	v_and_b32_sdwa v99, v85, v44 dst_sel:DWORD dst_unused:UNUSED_PAD src0_sel:WORD_1 src1_sel:DWORD
	s_mov_b32 s11, 0
	s_mov_b32 s24, exec_lo
	v_cmpx_lt_i16_e32 0x7f, v99
	s_xor_b32 s24, exec_lo, s24
	s_cbranch_execnz .LBB4_293
; %bb.184:                              ;   in Loop: Header=BB4_131 Depth=3
	s_or_saveexec_b32 s24, s24
	v_mov_b32_e32 v98, 0x7f800001
	s_xor_b32 exec_lo, exec_lo, s24
	s_cbranch_execnz .LBB4_296
.LBB4_185:                              ;   in Loop: Header=BB4_131 Depth=3
	s_or_b32 exec_lo, exec_lo, s24
	s_and_saveexec_b32 s24, s11
	s_cbranch_execz .LBB4_187
.LBB4_186:                              ;   in Loop: Header=BB4_131 Depth=3
	v_bfe_u32 v98, v85, 16, 2
	v_bfe_u32 v76, v85, 18, 5
	v_lshlrev_b32_e32 v77, 8, v85
	v_ffbh_u32_e32 v99, v98
	v_cmp_eq_u32_e32 vcc_lo, 0, v76
	v_min_u32_e32 v99, 32, v99
	v_subrev_nc_u32_e32 v75, 29, v99
	v_sub_nc_u32_e32 v99, 30, v99
	v_lshlrev_b32_sdwa v75, v75, v85 dst_sel:DWORD dst_unused:UNUSED_PAD src0_sel:DWORD src1_sel:WORD_1
	v_cndmask_b32_e32 v99, v76, v99, vcc_lo
	v_and_b32_e32 v75, 3, v75
	v_lshl_add_u32 v99, v99, 23, 0x37800000
	v_cndmask_b32_e32 v98, v98, v75, vcc_lo
	v_and_b32_e32 v75, 0x80000000, v77
	v_lshlrev_b32_e32 v98, 21, v98
	v_or3_b32 v98, v75, v99, v98
.LBB4_187:                              ;   in Loop: Header=BB4_131 Depth=3
	s_or_b32 exec_lo, exec_lo, s24
	v_mul_f32_e32 v98, v23, v98
	v_and_b32_e32 v23, 0x7f800000, v98
	v_cmp_ne_u32_e32 vcc_lo, 0x7f800000, v23
	v_mov_b32_e32 v23, 0x80
	s_and_saveexec_b32 s24, vcc_lo
	s_cbranch_execz .LBB4_195
; %bb.188:                              ;   in Loop: Header=BB4_131 Depth=3
	v_mov_b32_e32 v23, 0
	s_mov_b32 s25, exec_lo
	v_cmpx_ne_u32_e32 0, v98
	s_cbranch_execz .LBB4_194
; %bb.189:                              ;   in Loop: Header=BB4_131 Depth=3
	v_bfe_u32 v23, v98, 23, 8
	v_and_b32_e32 v99, 0x7fffff, v98
	v_sub_nc_u32_e32 v75, 0x70, v23
	v_cmp_gt_u32_e32 vcc_lo, 0x71, v23
	v_or_b32_e32 v76, 0x800000, v99
	v_cndmask_b32_e32 v75, 0, v75, vcc_lo
	v_cmp_eq_u32_e32 vcc_lo, 0, v23
	v_add_nc_u32_e32 v23, 0xffffff91, v23
	v_cndmask_b32_e64 v75, v75, 0x6f, vcc_lo
	v_cndmask_b32_e32 v99, v76, v99, vcc_lo
	v_cndmask_b32_e64 v23, v23, 0xffffff92, vcc_lo
	v_lshl_add_u32 v76, 0x200000, v75, -1
	v_lshrrev_b32_e32 v77, v75, v99
	v_lshlrev_b32_e64 v79, v75, 0x100000
	v_add_nc_u32_e32 v75, v75, v23
	v_and_b32_e32 v99, v76, v99
	v_bfe_u32 v78, v77, 21, 1
	v_cmp_eq_u32_e64 s11, v99, v79
	v_add_nc_u32_e32 v76, -1, v78
	v_cndmask_b32_e64 v99, 0, v76, s11
	v_lshrrev_b32_e32 v76, 23, v77
	s_mov_b32 s11, exec_lo
	v_add_nc_u32_e32 v99, v99, v77
	v_xor_b32_e32 v76, 1, v76
	v_and_b32_e32 v23, 0x1fffff, v99
	v_add_nc_u32_e32 v99, v23, v77
                                        ; implicit-def: $vgpr23
	v_cmpx_ne_u32_e64 v75, v76
	s_xor_b32 s11, exec_lo, s11
; %bb.190:                              ;   in Loop: Header=BB4_131 Depth=3
	v_cmp_lt_u32_e32 vcc_lo, 0xffffff, v99
	v_sub_nc_u32_e32 v23, v75, v76
	v_cndmask_b32_e64 v75, 0, 1, vcc_lo
	v_add_co_ci_u32_e64 v23, null, 0, v23, vcc_lo
	v_lshrrev_b32_e32 v99, v75, v99
; %bb.191:                              ;   in Loop: Header=BB4_131 Depth=3
	s_andn2_saveexec_b32 s11, s11
; %bb.192:                              ;   in Loop: Header=BB4_131 Depth=3
	v_bfe_u32 v23, v99, 23, 1
; %bb.193:                              ;   in Loop: Header=BB4_131 Depth=3
	s_or_b32 exec_lo, exec_lo, s11
	v_lshrrev_b32_e32 v99, 21, v99
	v_min_i32_e32 v75, 31, v23
	v_cmp_gt_i32_e32 vcc_lo, 32, v23
	v_and_b32_sdwa v98, v98, v41 dst_sel:DWORD dst_unused:UNUSED_PAD src0_sel:BYTE_3 src1_sel:DWORD
	v_lshlrev_b32_e32 v75, 2, v75
	v_cndmask_b32_e32 v99, 3, v99, vcc_lo
	v_and_b32_e32 v75, 0xfc, v75
	v_and_b32_e32 v76, 3, v99
	v_or_b32_e32 v23, v23, v99
	v_or3_b32 v98, v75, v98, v76
	v_cmp_ne_u32_e32 vcc_lo, 0, v23
	v_cndmask_b32_e32 v23, 0, v98, vcc_lo
.LBB4_194:                              ;   in Loop: Header=BB4_131 Depth=3
	s_or_b32 exec_lo, exec_lo, s25
.LBB4_195:                              ;   in Loop: Header=BB4_131 Depth=3
	s_or_b32 exec_lo, exec_lo, s24
	v_cmp_gt_i16_sdwa s24, v20, v40 src0_sel:BYTE_3 src1_sel:DWORD
	s_mov_b32 s11, 0
	s_and_saveexec_b32 s25, s24
	s_xor_b32 s24, exec_lo, s25
	s_cbranch_execnz .LBB4_297
; %bb.196:                              ;   in Loop: Header=BB4_131 Depth=3
	s_or_saveexec_b32 s24, s24
	v_mov_b32_e32 v98, 0x7f800001
	s_xor_b32 exec_lo, exec_lo, s24
	s_cbranch_execnz .LBB4_300
.LBB4_197:                              ;   in Loop: Header=BB4_131 Depth=3
	s_or_b32 exec_lo, exec_lo, s24
	s_and_saveexec_b32 s24, s11
	s_cbranch_execz .LBB4_199
.LBB4_198:                              ;   in Loop: Header=BB4_131 Depth=3
	v_bfe_u32 v98, v20, 24, 2
	v_bfe_u32 v76, v20, 26, 5
	v_ffbh_u32_e32 v99, v98
	v_cmp_eq_u32_e32 vcc_lo, 0, v76
	v_min_u32_e32 v99, 32, v99
	v_subrev_nc_u32_e32 v75, 29, v99
	v_sub_nc_u32_e32 v99, 30, v99
	v_lshlrev_b32_sdwa v75, v75, v20 dst_sel:DWORD dst_unused:UNUSED_PAD src0_sel:DWORD src1_sel:BYTE_3
	v_cndmask_b32_e32 v99, v76, v99, vcc_lo
	v_and_b32_e32 v20, 0x80000000, v20
	v_and_b32_e32 v75, 3, v75
	v_lshl_add_u32 v99, v99, 23, 0x37800000
	v_cndmask_b32_e32 v98, v98, v75, vcc_lo
	v_lshlrev_b32_e32 v98, 21, v98
	v_or3_b32 v98, v20, v99, v98
.LBB4_199:                              ;   in Loop: Header=BB4_131 Depth=3
	s_or_b32 exec_lo, exec_lo, s24
	v_cmp_gt_i16_sdwa s24, v85, v40 src0_sel:BYTE_3 src1_sel:DWORD
	s_mov_b32 s11, 0
	s_and_saveexec_b32 s25, s24
	s_xor_b32 s24, exec_lo, s25
	s_cbranch_execnz .LBB4_301
; %bb.200:                              ;   in Loop: Header=BB4_131 Depth=3
	s_or_saveexec_b32 s24, s24
	v_mov_b32_e32 v20, 0x7f800001
	s_xor_b32 exec_lo, exec_lo, s24
	s_cbranch_execnz .LBB4_304
.LBB4_201:                              ;   in Loop: Header=BB4_131 Depth=3
	s_or_b32 exec_lo, exec_lo, s24
	s_and_saveexec_b32 s24, s11
	s_cbranch_execz .LBB4_203
.LBB4_202:                              ;   in Loop: Header=BB4_131 Depth=3
	v_bfe_u32 v20, v85, 24, 2
	v_bfe_u32 v76, v85, 26, 5
	v_ffbh_u32_e32 v99, v20
	v_cmp_eq_u32_e32 vcc_lo, 0, v76
	v_min_u32_e32 v99, 32, v99
	v_subrev_nc_u32_e32 v75, 29, v99
	v_sub_nc_u32_e32 v99, 30, v99
	v_lshlrev_b32_sdwa v75, v75, v85 dst_sel:DWORD dst_unused:UNUSED_PAD src0_sel:DWORD src1_sel:BYTE_3
	v_cndmask_b32_e32 v99, v76, v99, vcc_lo
	v_and_b32_e32 v85, 0x80000000, v85
	v_and_b32_e32 v75, 3, v75
	v_lshl_add_u32 v99, v99, 23, 0x37800000
	v_cndmask_b32_e32 v20, v20, v75, vcc_lo
	v_lshlrev_b32_e32 v20, 21, v20
	v_or3_b32 v20, v85, v99, v20
.LBB4_203:                              ;   in Loop: Header=BB4_131 Depth=3
	s_or_b32 exec_lo, exec_lo, s24
	v_mul_f32_e32 v85, v98, v20
	v_and_b32_e32 v20, 0x7f800000, v85
	v_cmp_ne_u32_e32 vcc_lo, 0x7f800000, v20
	v_mov_b32_e32 v20, 0x8000
	s_and_saveexec_b32 s24, vcc_lo
	s_cbranch_execz .LBB4_211
; %bb.204:                              ;   in Loop: Header=BB4_131 Depth=3
	v_mov_b32_e32 v20, 0
	s_mov_b32 s25, exec_lo
	v_cmpx_ne_u32_e32 0, v85
	s_cbranch_execz .LBB4_210
; %bb.205:                              ;   in Loop: Header=BB4_131 Depth=3
	v_bfe_u32 v20, v85, 23, 8
	v_and_b32_e32 v98, 0x7fffff, v85
	v_sub_nc_u32_e32 v99, 0x70, v20
	v_cmp_gt_u32_e32 vcc_lo, 0x71, v20
	v_or_b32_e32 v75, 0x800000, v98
	v_cndmask_b32_e32 v99, 0, v99, vcc_lo
	v_cmp_eq_u32_e32 vcc_lo, 0, v20
	v_add_nc_u32_e32 v20, 0xffffff91, v20
	v_cndmask_b32_e64 v99, v99, 0x6f, vcc_lo
	v_cndmask_b32_e32 v98, v75, v98, vcc_lo
	v_cndmask_b32_e64 v20, v20, 0xffffff92, vcc_lo
	v_lshl_add_u32 v75, 0x200000, v99, -1
	v_lshrrev_b32_e32 v76, v99, v98
	v_lshlrev_b32_e64 v78, v99, 0x100000
	v_add_nc_u32_e32 v99, v99, v20
	v_and_b32_e32 v98, v75, v98
	v_bfe_u32 v77, v76, 21, 1
	v_cmp_eq_u32_e64 s11, v98, v78
	v_add_nc_u32_e32 v75, -1, v77
	v_cndmask_b32_e64 v98, 0, v75, s11
	v_lshrrev_b32_e32 v75, 23, v76
	s_mov_b32 s11, exec_lo
	v_add_nc_u32_e32 v98, v98, v76
	v_xor_b32_e32 v75, 1, v75
	v_and_b32_e32 v20, 0x1fffff, v98
	v_add_nc_u32_e32 v98, v20, v76
                                        ; implicit-def: $vgpr20
	v_cmpx_ne_u32_e64 v99, v75
	s_xor_b32 s11, exec_lo, s11
; %bb.206:                              ;   in Loop: Header=BB4_131 Depth=3
	v_cmp_lt_u32_e32 vcc_lo, 0xffffff, v98
	v_sub_nc_u32_e32 v20, v99, v75
	v_cndmask_b32_e64 v99, 0, 1, vcc_lo
	v_add_co_ci_u32_e64 v20, null, 0, v20, vcc_lo
	v_lshrrev_b32_e32 v98, v99, v98
; %bb.207:                              ;   in Loop: Header=BB4_131 Depth=3
	s_andn2_saveexec_b32 s11, s11
; %bb.208:                              ;   in Loop: Header=BB4_131 Depth=3
	v_bfe_u32 v20, v98, 23, 1
; %bb.209:                              ;   in Loop: Header=BB4_131 Depth=3
	s_or_b32 exec_lo, exec_lo, s11
	v_lshrrev_b32_e32 v98, 21, v98
	v_min_i32_e32 v99, 31, v20
	v_cmp_gt_i32_e32 vcc_lo, 32, v20
	v_and_b32_sdwa v85, v85, v41 dst_sel:DWORD dst_unused:UNUSED_PAD src0_sel:BYTE_3 src1_sel:DWORD
	v_lshlrev_b32_e32 v99, 2, v99
	v_cndmask_b32_e32 v98, 3, v98, vcc_lo
	v_and_b32_e32 v99, 0xfc, v99
	v_and_b32_e32 v75, 3, v98
	v_or_b32_e32 v20, v20, v98
	v_or3_b32 v85, v85, v99, v75
	v_cmp_ne_u32_e32 vcc_lo, 0, v20
	v_lshlrev_b32_e32 v85, 8, v85
	v_cndmask_b32_e32 v20, 0, v85, vcc_lo
.LBB4_210:                              ;   in Loop: Header=BB4_131 Depth=3
	s_or_b32 exec_lo, exec_lo, s25
.LBB4_211:                              ;   in Loop: Header=BB4_131 Depth=3
	s_or_b32 exec_lo, exec_lo, s24
	v_cmp_gt_i16_sdwa s24, v22, v40 src0_sel:BYTE_0 src1_sel:DWORD
	s_mov_b32 s11, 0
	s_and_saveexec_b32 s25, s24
	s_xor_b32 s24, exec_lo, s25
	s_cbranch_execnz .LBB4_305
; %bb.212:                              ;   in Loop: Header=BB4_131 Depth=3
	s_or_saveexec_b32 s24, s24
	v_mov_b32_e32 v85, 0x7f800001
	s_xor_b32 exec_lo, exec_lo, s24
	s_cbranch_execnz .LBB4_308
.LBB4_213:                              ;   in Loop: Header=BB4_131 Depth=3
	s_or_b32 exec_lo, exec_lo, s24
	s_and_saveexec_b32 s24, s11
	s_cbranch_execz .LBB4_215
.LBB4_214:                              ;   in Loop: Header=BB4_131 Depth=3
	v_and_b32_e32 v85, 3, v22
	v_bfe_u32 v75, v22, 2, 5
	v_lshlrev_b32_e32 v76, 24, v22
	v_ffbh_u32_e32 v98, v85
	v_cmp_eq_u32_e32 vcc_lo, 0, v75
	v_min_u32_e32 v98, 32, v98
	v_subrev_nc_u32_e32 v99, 29, v98
	v_sub_nc_u32_e32 v98, 30, v98
	v_lshlrev_b32_e32 v99, v99, v22
	v_cndmask_b32_e32 v98, v75, v98, vcc_lo
	v_and_b32_e32 v99, 3, v99
	v_lshl_add_u32 v98, v98, 23, 0x37800000
	v_cndmask_b32_e32 v85, v85, v99, vcc_lo
	v_and_b32_e32 v99, 0x80000000, v76
	v_lshlrev_b32_e32 v85, 21, v85
	v_or3_b32 v85, v99, v98, v85
.LBB4_215:                              ;   in Loop: Header=BB4_131 Depth=3
	s_or_b32 exec_lo, exec_lo, s24
	v_alignbit_b32 v54, v73, v74, v54
	s_mov_b32 s11, 0
	v_cmp_gt_i16_sdwa s24, v54, v40 src0_sel:BYTE_0 src1_sel:DWORD
	s_and_saveexec_b32 s25, s24
	s_xor_b32 s24, exec_lo, s25
	s_cbranch_execnz .LBB4_309
; %bb.216:                              ;   in Loop: Header=BB4_131 Depth=3
	s_or_saveexec_b32 s24, s24
	v_mov_b32_e32 v98, 0x7f800001
	s_xor_b32 exec_lo, exec_lo, s24
	s_cbranch_execnz .LBB4_312
.LBB4_217:                              ;   in Loop: Header=BB4_131 Depth=3
	s_or_b32 exec_lo, exec_lo, s24
	s_and_saveexec_b32 s24, s11
	s_cbranch_execz .LBB4_219
.LBB4_218:                              ;   in Loop: Header=BB4_131 Depth=3
	v_and_b32_e32 v98, 3, v54
	v_bfe_u32 v74, v54, 2, 5
	v_lshlrev_b32_e32 v75, 24, v54
	v_ffbh_u32_e32 v99, v98
	v_cmp_eq_u32_e32 vcc_lo, 0, v74
	v_min_u32_e32 v99, 32, v99
	v_subrev_nc_u32_e32 v73, 29, v99
	v_sub_nc_u32_e32 v99, 30, v99
	v_lshlrev_b32_e32 v73, v73, v54
	v_cndmask_b32_e32 v99, v74, v99, vcc_lo
	v_and_b32_e32 v73, 3, v73
	v_lshl_add_u32 v99, v99, 23, 0x37800000
	v_cndmask_b32_e32 v98, v98, v73, vcc_lo
	v_and_b32_e32 v73, 0x80000000, v75
	v_lshlrev_b32_e32 v98, 21, v98
	v_or3_b32 v98, v73, v99, v98
.LBB4_219:                              ;   in Loop: Header=BB4_131 Depth=3
	s_or_b32 exec_lo, exec_lo, s24
	v_mul_f32_e32 v98, v85, v98
	v_and_b32_e32 v85, 0x7f800000, v98
	v_cmp_ne_u32_e32 vcc_lo, 0x7f800000, v85
	v_mov_b32_e32 v85, 0x80
	s_and_saveexec_b32 s24, vcc_lo
	s_cbranch_execz .LBB4_227
; %bb.220:                              ;   in Loop: Header=BB4_131 Depth=3
	v_mov_b32_e32 v85, 0
	s_mov_b32 s25, exec_lo
	v_cmpx_ne_u32_e32 0, v98
	s_cbranch_execz .LBB4_226
; %bb.221:                              ;   in Loop: Header=BB4_131 Depth=3
	v_bfe_u32 v85, v98, 23, 8
	v_and_b32_e32 v99, 0x7fffff, v98
	v_sub_nc_u32_e32 v73, 0x70, v85
	v_cmp_gt_u32_e32 vcc_lo, 0x71, v85
	v_or_b32_e32 v74, 0x800000, v99
	v_cndmask_b32_e32 v73, 0, v73, vcc_lo
	v_cmp_eq_u32_e32 vcc_lo, 0, v85
	v_add_nc_u32_e32 v85, 0xffffff91, v85
	v_cndmask_b32_e64 v73, v73, 0x6f, vcc_lo
	v_cndmask_b32_e32 v99, v74, v99, vcc_lo
	v_cndmask_b32_e64 v85, v85, 0xffffff92, vcc_lo
	v_lshl_add_u32 v74, 0x200000, v73, -1
	v_lshrrev_b32_e32 v75, v73, v99
	v_lshlrev_b32_e64 v77, v73, 0x100000
	v_add_nc_u32_e32 v73, v73, v85
	v_and_b32_e32 v99, v74, v99
	v_bfe_u32 v76, v75, 21, 1
	v_cmp_eq_u32_e64 s11, v99, v77
	v_add_nc_u32_e32 v74, -1, v76
	v_cndmask_b32_e64 v99, 0, v74, s11
	v_lshrrev_b32_e32 v74, 23, v75
	s_mov_b32 s11, exec_lo
	v_add_nc_u32_e32 v99, v99, v75
	v_xor_b32_e32 v74, 1, v74
	v_and_b32_e32 v85, 0x1fffff, v99
	v_add_nc_u32_e32 v99, v85, v75
                                        ; implicit-def: $vgpr85
	v_cmpx_ne_u32_e64 v73, v74
	s_xor_b32 s11, exec_lo, s11
; %bb.222:                              ;   in Loop: Header=BB4_131 Depth=3
	v_cmp_lt_u32_e32 vcc_lo, 0xffffff, v99
	v_sub_nc_u32_e32 v85, v73, v74
	v_cndmask_b32_e64 v73, 0, 1, vcc_lo
	v_add_co_ci_u32_e64 v85, null, 0, v85, vcc_lo
	v_lshrrev_b32_e32 v99, v73, v99
; %bb.223:                              ;   in Loop: Header=BB4_131 Depth=3
	s_andn2_saveexec_b32 s11, s11
; %bb.224:                              ;   in Loop: Header=BB4_131 Depth=3
	v_bfe_u32 v85, v99, 23, 1
; %bb.225:                              ;   in Loop: Header=BB4_131 Depth=3
	s_or_b32 exec_lo, exec_lo, s11
	v_lshrrev_b32_e32 v99, 21, v99
	v_min_i32_e32 v73, 31, v85
	v_cmp_gt_i32_e32 vcc_lo, 32, v85
	v_and_b32_sdwa v98, v98, v41 dst_sel:DWORD dst_unused:UNUSED_PAD src0_sel:BYTE_3 src1_sel:DWORD
	v_lshlrev_b32_e32 v73, 2, v73
	v_cndmask_b32_e32 v99, 3, v99, vcc_lo
	v_and_b32_e32 v73, 0xfc, v73
	v_and_b32_e32 v74, 3, v99
	v_or_b32_e32 v85, v85, v99
	v_or3_b32 v98, v73, v98, v74
	v_cmp_ne_u32_e32 vcc_lo, 0, v85
	v_cndmask_b32_e32 v85, 0, v98, vcc_lo
.LBB4_226:                              ;   in Loop: Header=BB4_131 Depth=3
	s_or_b32 exec_lo, exec_lo, s25
.LBB4_227:                              ;   in Loop: Header=BB4_131 Depth=3
	s_or_b32 exec_lo, exec_lo, s24
	v_cmp_gt_i16_sdwa s24, v22, v40 src0_sel:BYTE_1 src1_sel:DWORD
	s_mov_b32 s11, 0
	s_and_saveexec_b32 s25, s24
	s_xor_b32 s24, exec_lo, s25
	s_cbranch_execnz .LBB4_313
; %bb.228:                              ;   in Loop: Header=BB4_131 Depth=3
	s_or_saveexec_b32 s24, s24
	v_mov_b32_e32 v98, 0x7f800001
	s_xor_b32 exec_lo, exec_lo, s24
	s_cbranch_execnz .LBB4_316
.LBB4_229:                              ;   in Loop: Header=BB4_131 Depth=3
	s_or_b32 exec_lo, exec_lo, s24
	s_and_saveexec_b32 s24, s11
	s_cbranch_execz .LBB4_231
.LBB4_230:                              ;   in Loop: Header=BB4_131 Depth=3
	v_and_b32_sdwa v98, v42, v22 dst_sel:DWORD dst_unused:UNUSED_PAD src0_sel:DWORD src1_sel:BYTE_1
	v_and_b32_e32 v99, 3, v98
	v_bfe_u32 v75, v98, 2, 5
	v_ffbh_u32_e32 v73, v99
	v_cmp_eq_u32_e32 vcc_lo, 0, v75
	v_min_u32_e32 v73, 32, v73
	v_subrev_nc_u32_e32 v74, 29, v73
	v_sub_nc_u32_e32 v73, 30, v73
	v_lshlrev_b32_e32 v98, v74, v98
	v_lshlrev_b32_sdwa v74, v43, v22 dst_sel:DWORD dst_unused:UNUSED_PAD src0_sel:DWORD src1_sel:BYTE_1
	v_cndmask_b32_e32 v73, v75, v73, vcc_lo
	v_and_b32_e32 v98, 3, v98
	v_lshl_add_u32 v73, v73, 23, 0x37800000
	v_cndmask_b32_e32 v98, v99, v98, vcc_lo
	v_and_b32_e32 v99, 0x80000000, v74
	v_lshlrev_b32_e32 v98, 21, v98
	v_or3_b32 v98, v99, v73, v98
.LBB4_231:                              ;   in Loop: Header=BB4_131 Depth=3
	s_or_b32 exec_lo, exec_lo, s24
	v_cmp_gt_i16_sdwa s24, v54, v40 src0_sel:BYTE_1 src1_sel:DWORD
	s_mov_b32 s11, 0
	s_and_saveexec_b32 s25, s24
	s_xor_b32 s24, exec_lo, s25
	s_cbranch_execnz .LBB4_317
; %bb.232:                              ;   in Loop: Header=BB4_131 Depth=3
	s_or_saveexec_b32 s24, s24
	v_mov_b32_e32 v99, 0x7f800001
	s_xor_b32 exec_lo, exec_lo, s24
	s_cbranch_execnz .LBB4_320
.LBB4_233:                              ;   in Loop: Header=BB4_131 Depth=3
	s_or_b32 exec_lo, exec_lo, s24
	s_and_saveexec_b32 s24, s11
	s_cbranch_execz .LBB4_235
.LBB4_234:                              ;   in Loop: Header=BB4_131 Depth=3
	v_and_b32_sdwa v99, v42, v54 dst_sel:DWORD dst_unused:UNUSED_PAD src0_sel:DWORD src1_sel:BYTE_1
	v_and_b32_e32 v73, 3, v99
	v_bfe_u32 v76, v99, 2, 5
	v_ffbh_u32_e32 v74, v73
	v_cmp_eq_u32_e32 vcc_lo, 0, v76
	v_min_u32_e32 v74, 32, v74
	v_subrev_nc_u32_e32 v75, 29, v74
	v_sub_nc_u32_e32 v74, 30, v74
	v_lshlrev_b32_e32 v99, v75, v99
	v_lshlrev_b32_sdwa v75, v43, v54 dst_sel:DWORD dst_unused:UNUSED_PAD src0_sel:DWORD src1_sel:BYTE_1
	v_cndmask_b32_e32 v74, v76, v74, vcc_lo
	v_and_b32_e32 v99, 3, v99
	v_lshl_add_u32 v74, v74, 23, 0x37800000
	v_cndmask_b32_e32 v99, v73, v99, vcc_lo
	v_and_b32_e32 v73, 0x80000000, v75
	v_lshlrev_b32_e32 v99, 21, v99
	v_or3_b32 v99, v73, v74, v99
.LBB4_235:                              ;   in Loop: Header=BB4_131 Depth=3
	s_or_b32 exec_lo, exec_lo, s24
	v_mul_f32_e32 v99, v98, v99
	v_and_b32_e32 v98, 0x7f800000, v99
	v_cmp_ne_u32_e32 vcc_lo, 0x7f800000, v98
	v_mov_b32_e32 v98, 0x8000
	s_and_saveexec_b32 s24, vcc_lo
	s_cbranch_execz .LBB4_243
; %bb.236:                              ;   in Loop: Header=BB4_131 Depth=3
	v_mov_b32_e32 v98, 0
	s_mov_b32 s25, exec_lo
	v_cmpx_ne_u32_e32 0, v99
	s_cbranch_execz .LBB4_242
; %bb.237:                              ;   in Loop: Header=BB4_131 Depth=3
	v_bfe_u32 v98, v99, 23, 8
	v_and_b32_e32 v73, 0x7fffff, v99
	v_sub_nc_u32_e32 v74, 0x70, v98
	v_cmp_gt_u32_e32 vcc_lo, 0x71, v98
	v_or_b32_e32 v75, 0x800000, v73
	v_cndmask_b32_e32 v74, 0, v74, vcc_lo
	v_cmp_eq_u32_e32 vcc_lo, 0, v98
	v_add_nc_u32_e32 v98, 0xffffff91, v98
	v_cndmask_b32_e64 v74, v74, 0x6f, vcc_lo
	v_cndmask_b32_e32 v73, v75, v73, vcc_lo
	v_cndmask_b32_e64 v98, v98, 0xffffff92, vcc_lo
	v_lshl_add_u32 v75, 0x200000, v74, -1
	v_lshrrev_b32_e32 v76, v74, v73
	v_lshlrev_b32_e64 v78, v74, 0x100000
	v_add_nc_u32_e32 v74, v74, v98
	v_and_b32_e32 v73, v75, v73
	v_bfe_u32 v77, v76, 21, 1
	v_cmp_eq_u32_e64 s11, v73, v78
	v_add_nc_u32_e32 v75, -1, v77
	v_cndmask_b32_e64 v73, 0, v75, s11
	v_lshrrev_b32_e32 v75, 23, v76
	s_mov_b32 s11, exec_lo
	v_add_nc_u32_e32 v73, v73, v76
	v_xor_b32_e32 v75, 1, v75
	v_and_b32_e32 v98, 0x1fffff, v73
	v_add_nc_u32_e32 v73, v98, v76
                                        ; implicit-def: $vgpr98
	v_cmpx_ne_u32_e64 v74, v75
	s_xor_b32 s11, exec_lo, s11
; %bb.238:                              ;   in Loop: Header=BB4_131 Depth=3
	v_cmp_lt_u32_e32 vcc_lo, 0xffffff, v73
	v_sub_nc_u32_e32 v98, v74, v75
	v_cndmask_b32_e64 v74, 0, 1, vcc_lo
	v_add_co_ci_u32_e64 v98, null, 0, v98, vcc_lo
	v_lshrrev_b32_e32 v73, v74, v73
; %bb.239:                              ;   in Loop: Header=BB4_131 Depth=3
	s_andn2_saveexec_b32 s11, s11
; %bb.240:                              ;   in Loop: Header=BB4_131 Depth=3
	v_bfe_u32 v98, v73, 23, 1
; %bb.241:                              ;   in Loop: Header=BB4_131 Depth=3
	s_or_b32 exec_lo, exec_lo, s11
	v_lshrrev_b32_e32 v73, 21, v73
	v_min_i32_e32 v74, 31, v98
	v_cmp_gt_i32_e32 vcc_lo, 32, v98
	v_and_b32_sdwa v99, v99, v41 dst_sel:DWORD dst_unused:UNUSED_PAD src0_sel:BYTE_3 src1_sel:DWORD
	v_lshlrev_b32_e32 v74, 2, v74
	v_cndmask_b32_e32 v73, 3, v73, vcc_lo
	v_and_b32_e32 v74, 0xfc, v74
	v_and_b32_e32 v75, 3, v73
	v_or_b32_e32 v98, v98, v73
	v_or3_b32 v99, v99, v74, v75
	v_cmp_ne_u32_e32 vcc_lo, 0, v98
	v_lshlrev_b32_e32 v99, 8, v99
	v_cndmask_b32_e32 v98, 0, v99, vcc_lo
.LBB4_242:                              ;   in Loop: Header=BB4_131 Depth=3
	s_or_b32 exec_lo, exec_lo, s25
.LBB4_243:                              ;   in Loop: Header=BB4_131 Depth=3
	s_or_b32 exec_lo, exec_lo, s24
	v_and_b32_sdwa v73, v22, v44 dst_sel:DWORD dst_unused:UNUSED_PAD src0_sel:WORD_1 src1_sel:DWORD
	s_mov_b32 s11, 0
	s_mov_b32 s24, exec_lo
	v_cmpx_lt_i16_e32 0x7f, v73
	s_xor_b32 s24, exec_lo, s24
	s_cbranch_execnz .LBB4_321
; %bb.244:                              ;   in Loop: Header=BB4_131 Depth=3
	s_or_saveexec_b32 s24, s24
	v_mov_b32_e32 v99, 0x7f800001
	s_xor_b32 exec_lo, exec_lo, s24
	s_cbranch_execnz .LBB4_324
.LBB4_245:                              ;   in Loop: Header=BB4_131 Depth=3
	s_or_b32 exec_lo, exec_lo, s24
	s_and_saveexec_b32 s24, s11
	s_cbranch_execz .LBB4_247
.LBB4_246:                              ;   in Loop: Header=BB4_131 Depth=3
	v_bfe_u32 v99, v22, 16, 2
	v_bfe_u32 v75, v22, 18, 5
	v_lshlrev_b32_e32 v76, 8, v22
	v_ffbh_u32_e32 v73, v99
	v_cmp_eq_u32_e32 vcc_lo, 0, v75
	v_min_u32_e32 v73, 32, v73
	v_subrev_nc_u32_e32 v74, 29, v73
	v_sub_nc_u32_e32 v73, 30, v73
	v_lshlrev_b32_sdwa v74, v74, v22 dst_sel:DWORD dst_unused:UNUSED_PAD src0_sel:DWORD src1_sel:WORD_1
	v_cndmask_b32_e32 v73, v75, v73, vcc_lo
	v_and_b32_e32 v74, 3, v74
	v_lshl_add_u32 v73, v73, 23, 0x37800000
	v_cndmask_b32_e32 v99, v99, v74, vcc_lo
	v_and_b32_e32 v74, 0x80000000, v76
	v_lshlrev_b32_e32 v99, 21, v99
	v_or3_b32 v99, v74, v73, v99
.LBB4_247:                              ;   in Loop: Header=BB4_131 Depth=3
	s_or_b32 exec_lo, exec_lo, s24
	v_and_b32_sdwa v74, v54, v44 dst_sel:DWORD dst_unused:UNUSED_PAD src0_sel:WORD_1 src1_sel:DWORD
	s_mov_b32 s11, 0
	s_mov_b32 s24, exec_lo
	v_cmpx_lt_i16_e32 0x7f, v74
	s_xor_b32 s24, exec_lo, s24
	s_cbranch_execnz .LBB4_325
; %bb.248:                              ;   in Loop: Header=BB4_131 Depth=3
	s_or_saveexec_b32 s24, s24
	v_mov_b32_e32 v73, 0x7f800001
	s_xor_b32 exec_lo, exec_lo, s24
	s_cbranch_execnz .LBB4_328
.LBB4_249:                              ;   in Loop: Header=BB4_131 Depth=3
	s_or_b32 exec_lo, exec_lo, s24
	s_and_saveexec_b32 s24, s11
	s_cbranch_execz .LBB4_251
.LBB4_250:                              ;   in Loop: Header=BB4_131 Depth=3
	v_bfe_u32 v73, v54, 16, 2
	v_bfe_u32 v76, v54, 18, 5
	v_lshlrev_b32_e32 v77, 8, v54
	v_ffbh_u32_e32 v74, v73
	v_cmp_eq_u32_e32 vcc_lo, 0, v76
	v_min_u32_e32 v74, 32, v74
	v_subrev_nc_u32_e32 v75, 29, v74
	v_sub_nc_u32_e32 v74, 30, v74
	v_lshlrev_b32_sdwa v75, v75, v54 dst_sel:DWORD dst_unused:UNUSED_PAD src0_sel:DWORD src1_sel:WORD_1
	v_cndmask_b32_e32 v74, v76, v74, vcc_lo
	v_and_b32_e32 v75, 3, v75
	v_lshl_add_u32 v74, v74, 23, 0x37800000
	v_cndmask_b32_e32 v73, v73, v75, vcc_lo
	v_and_b32_e32 v75, 0x80000000, v77
	v_lshlrev_b32_e32 v73, 21, v73
	v_or3_b32 v73, v75, v74, v73
.LBB4_251:                              ;   in Loop: Header=BB4_131 Depth=3
	s_or_b32 exec_lo, exec_lo, s24
	v_mul_f32_e32 v73, v99, v73
	v_and_b32_e32 v99, 0x7f800000, v73
	v_cmp_ne_u32_e32 vcc_lo, 0x7f800000, v99
	v_mov_b32_e32 v99, 0x80
	s_and_saveexec_b32 s24, vcc_lo
	s_cbranch_execz .LBB4_259
; %bb.252:                              ;   in Loop: Header=BB4_131 Depth=3
	v_mov_b32_e32 v99, 0
	s_mov_b32 s25, exec_lo
	v_cmpx_ne_u32_e32 0, v73
	s_cbranch_execz .LBB4_258
; %bb.253:                              ;   in Loop: Header=BB4_131 Depth=3
	v_bfe_u32 v99, v73, 23, 8
	v_and_b32_e32 v74, 0x7fffff, v73
	v_sub_nc_u32_e32 v75, 0x70, v99
	v_cmp_gt_u32_e32 vcc_lo, 0x71, v99
	v_or_b32_e32 v76, 0x800000, v74
	v_cndmask_b32_e32 v75, 0, v75, vcc_lo
	v_cmp_eq_u32_e32 vcc_lo, 0, v99
	v_add_nc_u32_e32 v99, 0xffffff91, v99
	v_cndmask_b32_e64 v75, v75, 0x6f, vcc_lo
	v_cndmask_b32_e32 v74, v76, v74, vcc_lo
	v_cndmask_b32_e64 v99, v99, 0xffffff92, vcc_lo
	v_lshl_add_u32 v76, 0x200000, v75, -1
	v_lshrrev_b32_e32 v77, v75, v74
	v_lshlrev_b32_e64 v79, v75, 0x100000
	v_add_nc_u32_e32 v75, v75, v99
	v_and_b32_e32 v74, v76, v74
	v_bfe_u32 v78, v77, 21, 1
	v_cmp_eq_u32_e64 s11, v74, v79
	v_add_nc_u32_e32 v76, -1, v78
	v_cndmask_b32_e64 v74, 0, v76, s11
	v_lshrrev_b32_e32 v76, 23, v77
	s_mov_b32 s11, exec_lo
	v_add_nc_u32_e32 v74, v74, v77
	v_xor_b32_e32 v76, 1, v76
	v_and_b32_e32 v99, 0x1fffff, v74
	v_add_nc_u32_e32 v74, v99, v77
                                        ; implicit-def: $vgpr99
	v_cmpx_ne_u32_e64 v75, v76
	s_xor_b32 s11, exec_lo, s11
; %bb.254:                              ;   in Loop: Header=BB4_131 Depth=3
	v_cmp_lt_u32_e32 vcc_lo, 0xffffff, v74
	v_sub_nc_u32_e32 v99, v75, v76
	v_cndmask_b32_e64 v75, 0, 1, vcc_lo
	v_add_co_ci_u32_e64 v99, null, 0, v99, vcc_lo
	v_lshrrev_b32_e32 v74, v75, v74
; %bb.255:                              ;   in Loop: Header=BB4_131 Depth=3
	s_andn2_saveexec_b32 s11, s11
; %bb.256:                              ;   in Loop: Header=BB4_131 Depth=3
	v_bfe_u32 v99, v74, 23, 1
; %bb.257:                              ;   in Loop: Header=BB4_131 Depth=3
	s_or_b32 exec_lo, exec_lo, s11
	v_lshrrev_b32_e32 v74, 21, v74
	v_min_i32_e32 v75, 31, v99
	v_cmp_gt_i32_e32 vcc_lo, 32, v99
	v_and_b32_sdwa v73, v73, v41 dst_sel:DWORD dst_unused:UNUSED_PAD src0_sel:BYTE_3 src1_sel:DWORD
	v_lshlrev_b32_e32 v75, 2, v75
	v_cndmask_b32_e32 v74, 3, v74, vcc_lo
	v_and_b32_e32 v75, 0xfc, v75
	v_and_b32_e32 v76, 3, v74
	v_or_b32_e32 v99, v99, v74
	v_or3_b32 v73, v75, v73, v76
	v_cmp_ne_u32_e32 vcc_lo, 0, v99
	v_cndmask_b32_e32 v99, 0, v73, vcc_lo
.LBB4_258:                              ;   in Loop: Header=BB4_131 Depth=3
	s_or_b32 exec_lo, exec_lo, s25
.LBB4_259:                              ;   in Loop: Header=BB4_131 Depth=3
	s_or_b32 exec_lo, exec_lo, s24
	v_cmp_gt_i16_sdwa s24, v22, v40 src0_sel:BYTE_3 src1_sel:DWORD
	s_mov_b32 s11, 0
	s_and_saveexec_b32 s25, s24
	s_xor_b32 s24, exec_lo, s25
	s_cbranch_execnz .LBB4_329
; %bb.260:                              ;   in Loop: Header=BB4_131 Depth=3
	s_or_saveexec_b32 s24, s24
	v_mov_b32_e32 v73, 0x7f800001
	s_xor_b32 exec_lo, exec_lo, s24
	s_cbranch_execnz .LBB4_332
.LBB4_261:                              ;   in Loop: Header=BB4_131 Depth=3
	s_or_b32 exec_lo, exec_lo, s24
	s_and_saveexec_b32 s24, s11
	s_cbranch_execz .LBB4_263
.LBB4_262:                              ;   in Loop: Header=BB4_131 Depth=3
	v_bfe_u32 v73, v22, 24, 2
	v_bfe_u32 v76, v22, 26, 5
	v_ffbh_u32_e32 v74, v73
	v_cmp_eq_u32_e32 vcc_lo, 0, v76
	v_min_u32_e32 v74, 32, v74
	v_subrev_nc_u32_e32 v75, 29, v74
	v_sub_nc_u32_e32 v74, 30, v74
	v_lshlrev_b32_sdwa v75, v75, v22 dst_sel:DWORD dst_unused:UNUSED_PAD src0_sel:DWORD src1_sel:BYTE_3
	v_cndmask_b32_e32 v74, v76, v74, vcc_lo
	v_and_b32_e32 v22, 0x80000000, v22
	v_and_b32_e32 v75, 3, v75
	v_lshl_add_u32 v74, v74, 23, 0x37800000
	v_cndmask_b32_e32 v73, v73, v75, vcc_lo
	v_lshlrev_b32_e32 v73, 21, v73
	v_or3_b32 v73, v22, v74, v73
.LBB4_263:                              ;   in Loop: Header=BB4_131 Depth=3
	s_or_b32 exec_lo, exec_lo, s24
	v_cmp_gt_i16_sdwa s24, v54, v40 src0_sel:BYTE_3 src1_sel:DWORD
	s_mov_b32 s11, 0
	s_and_saveexec_b32 s25, s24
	s_xor_b32 s24, exec_lo, s25
	s_cbranch_execnz .LBB4_333
; %bb.264:                              ;   in Loop: Header=BB4_131 Depth=3
	s_or_saveexec_b32 s24, s24
	v_mov_b32_e32 v22, 0x7f800001
	s_xor_b32 exec_lo, exec_lo, s24
	s_cbranch_execnz .LBB4_336
.LBB4_265:                              ;   in Loop: Header=BB4_131 Depth=3
	s_or_b32 exec_lo, exec_lo, s24
	s_and_saveexec_b32 s24, s11
	s_cbranch_execz .LBB4_267
.LBB4_266:                              ;   in Loop: Header=BB4_131 Depth=3
	v_bfe_u32 v22, v54, 24, 2
	v_bfe_u32 v76, v54, 26, 5
	v_ffbh_u32_e32 v74, v22
	v_cmp_eq_u32_e32 vcc_lo, 0, v76
	v_min_u32_e32 v74, 32, v74
	v_subrev_nc_u32_e32 v75, 29, v74
	v_sub_nc_u32_e32 v74, 30, v74
	v_lshlrev_b32_sdwa v75, v75, v54 dst_sel:DWORD dst_unused:UNUSED_PAD src0_sel:DWORD src1_sel:BYTE_3
	v_cndmask_b32_e32 v74, v76, v74, vcc_lo
	v_and_b32_e32 v54, 0x80000000, v54
	v_and_b32_e32 v75, 3, v75
	v_lshl_add_u32 v74, v74, 23, 0x37800000
	v_cndmask_b32_e32 v22, v22, v75, vcc_lo
	v_lshlrev_b32_e32 v22, 21, v22
	v_or3_b32 v22, v54, v74, v22
.LBB4_267:                              ;   in Loop: Header=BB4_131 Depth=3
	s_or_b32 exec_lo, exec_lo, s24
	v_mul_f32_e32 v22, v73, v22
	v_and_b32_e32 v54, 0x7f800000, v22
	v_cmp_ne_u32_e32 vcc_lo, 0x7f800000, v54
	v_mov_b32_e32 v54, 0x8000
	s_and_saveexec_b32 s24, vcc_lo
	s_cbranch_execz .LBB4_130
; %bb.268:                              ;   in Loop: Header=BB4_131 Depth=3
	v_mov_b32_e32 v54, 0
	s_mov_b32 s25, exec_lo
	v_cmpx_ne_u32_e32 0, v22
	s_cbranch_execz .LBB4_129
; %bb.269:                              ;   in Loop: Header=BB4_131 Depth=3
	v_bfe_u32 v54, v22, 23, 8
	v_and_b32_e32 v73, 0x7fffff, v22
	v_sub_nc_u32_e32 v74, 0x70, v54
	v_cmp_gt_u32_e32 vcc_lo, 0x71, v54
	v_or_b32_e32 v75, 0x800000, v73
	v_cndmask_b32_e32 v74, 0, v74, vcc_lo
	v_cmp_eq_u32_e32 vcc_lo, 0, v54
	v_add_nc_u32_e32 v54, 0xffffff91, v54
	v_cndmask_b32_e64 v74, v74, 0x6f, vcc_lo
	v_cndmask_b32_e32 v73, v75, v73, vcc_lo
	v_cndmask_b32_e64 v54, v54, 0xffffff92, vcc_lo
	v_lshl_add_u32 v75, 0x200000, v74, -1
	v_lshrrev_b32_e32 v76, v74, v73
	v_lshlrev_b32_e64 v78, v74, 0x100000
	v_add_nc_u32_e32 v74, v74, v54
	v_and_b32_e32 v73, v75, v73
	v_bfe_u32 v77, v76, 21, 1
	v_cmp_eq_u32_e64 s11, v73, v78
	v_add_nc_u32_e32 v75, -1, v77
	v_cndmask_b32_e64 v73, 0, v75, s11
	v_lshrrev_b32_e32 v75, 23, v76
	s_mov_b32 s11, exec_lo
	v_add_nc_u32_e32 v73, v73, v76
	v_xor_b32_e32 v75, 1, v75
	v_and_b32_e32 v54, 0x1fffff, v73
	v_add_nc_u32_e32 v73, v54, v76
                                        ; implicit-def: $vgpr54
	v_cmpx_ne_u32_e64 v74, v75
	s_xor_b32 s11, exec_lo, s11
; %bb.270:                              ;   in Loop: Header=BB4_131 Depth=3
	v_cmp_lt_u32_e32 vcc_lo, 0xffffff, v73
	v_sub_nc_u32_e32 v54, v74, v75
	v_cndmask_b32_e64 v74, 0, 1, vcc_lo
	v_add_co_ci_u32_e64 v54, null, 0, v54, vcc_lo
	v_lshrrev_b32_e32 v73, v74, v73
; %bb.271:                              ;   in Loop: Header=BB4_131 Depth=3
	s_andn2_saveexec_b32 s11, s11
	s_cbranch_execz .LBB4_128
; %bb.272:                              ;   in Loop: Header=BB4_131 Depth=3
	v_bfe_u32 v54, v73, 23, 1
	s_branch .LBB4_128
.LBB4_273:                              ;   in Loop: Header=BB4_131 Depth=3
	v_cmp_eq_u16_sdwa s26, v20, v41 src0_sel:BYTE_0 src1_sel:DWORD
	s_mov_b32 s11, -1
	s_and_saveexec_b32 s25, s26
; %bb.274:                              ;   in Loop: Header=BB4_131 Depth=3
	s_xor_b32 s11, exec_lo, -1
; %bb.275:                              ;   in Loop: Header=BB4_131 Depth=3
	s_or_b32 exec_lo, exec_lo, s25
	s_and_b32 s11, s11, exec_lo
	s_or_saveexec_b32 s24, s24
	v_mov_b32_e32 v21, 0x7f800001
	s_xor_b32 exec_lo, exec_lo, s24
	s_cbranch_execz .LBB4_149
.LBB4_276:                              ;   in Loop: Header=BB4_131 Depth=3
	v_cmp_ne_u16_sdwa s25, v20, v55 src0_sel:BYTE_0 src1_sel:DWORD
	v_mov_b32_e32 v21, 0
	s_andn2_b32 s11, s11, exec_lo
	s_and_b32 s25, s25, exec_lo
	s_or_b32 s11, s11, s25
	s_or_b32 exec_lo, exec_lo, s24
	s_and_saveexec_b32 s24, s11
	s_cbranch_execnz .LBB4_150
	s_branch .LBB4_151
.LBB4_277:                              ;   in Loop: Header=BB4_131 Depth=3
	v_cmp_eq_u16_sdwa s26, v85, v41 src0_sel:BYTE_0 src1_sel:DWORD
	s_mov_b32 s11, -1
	s_and_saveexec_b32 s25, s26
; %bb.278:                              ;   in Loop: Header=BB4_131 Depth=3
	s_xor_b32 s11, exec_lo, -1
; %bb.279:                              ;   in Loop: Header=BB4_131 Depth=3
	s_or_b32 exec_lo, exec_lo, s25
	s_and_b32 s11, s11, exec_lo
	s_or_saveexec_b32 s24, s24
	v_mov_b32_e32 v18, 0x7f800001
	s_xor_b32 exec_lo, exec_lo, s24
	s_cbranch_execz .LBB4_153
.LBB4_280:                              ;   in Loop: Header=BB4_131 Depth=3
	v_cmp_ne_u16_sdwa s25, v85, v55 src0_sel:BYTE_0 src1_sel:DWORD
	v_mov_b32_e32 v18, 0
	s_andn2_b32 s11, s11, exec_lo
	s_and_b32 s25, s25, exec_lo
	s_or_b32 s11, s11, s25
	s_or_b32 exec_lo, exec_lo, s24
	s_and_saveexec_b32 s24, s11
	s_cbranch_execnz .LBB4_154
	s_branch .LBB4_155
.LBB4_281:                              ;   in Loop: Header=BB4_131 Depth=3
	v_cmp_eq_u16_sdwa s26, v20, v41 src0_sel:BYTE_1 src1_sel:DWORD
	s_mov_b32 s11, -1
	s_and_saveexec_b32 s25, s26
; %bb.282:                              ;   in Loop: Header=BB4_131 Depth=3
	s_xor_b32 s11, exec_lo, -1
; %bb.283:                              ;   in Loop: Header=BB4_131 Depth=3
	s_or_b32 exec_lo, exec_lo, s25
	s_and_b32 s11, s11, exec_lo
	s_or_saveexec_b32 s24, s24
	v_mov_b32_e32 v21, 0x7f800001
	s_xor_b32 exec_lo, exec_lo, s24
	s_cbranch_execz .LBB4_165
.LBB4_284:                              ;   in Loop: Header=BB4_131 Depth=3
	v_cmp_ne_u16_sdwa s25, v20, v55 src0_sel:BYTE_1 src1_sel:DWORD
	v_mov_b32_e32 v21, 0
	s_andn2_b32 s11, s11, exec_lo
	s_and_b32 s25, s25, exec_lo
	s_or_b32 s11, s11, s25
	s_or_b32 exec_lo, exec_lo, s24
	s_and_saveexec_b32 s24, s11
	s_cbranch_execnz .LBB4_166
	s_branch .LBB4_167
.LBB4_285:                              ;   in Loop: Header=BB4_131 Depth=3
	v_cmp_eq_u16_sdwa s26, v85, v41 src0_sel:BYTE_1 src1_sel:DWORD
	s_mov_b32 s11, -1
	s_and_saveexec_b32 s25, s26
; %bb.286:                              ;   in Loop: Header=BB4_131 Depth=3
	s_xor_b32 s11, exec_lo, -1
; %bb.287:                              ;   in Loop: Header=BB4_131 Depth=3
	s_or_b32 exec_lo, exec_lo, s25
	s_and_b32 s11, s11, exec_lo
	s_or_saveexec_b32 s24, s24
	v_mov_b32_e32 v23, 0x7f800001
	s_xor_b32 exec_lo, exec_lo, s24
	s_cbranch_execz .LBB4_169
.LBB4_288:                              ;   in Loop: Header=BB4_131 Depth=3
	v_cmp_ne_u16_sdwa s25, v85, v55 src0_sel:BYTE_1 src1_sel:DWORD
	v_mov_b32_e32 v23, 0
	s_andn2_b32 s11, s11, exec_lo
	s_and_b32 s25, s25, exec_lo
	s_or_b32 s11, s11, s25
	s_or_b32 exec_lo, exec_lo, s24
	s_and_saveexec_b32 s24, s11
	s_cbranch_execnz .LBB4_170
	s_branch .LBB4_171
.LBB4_289:                              ;   in Loop: Header=BB4_131 Depth=3
	s_mov_b32 s11, -1
	s_mov_b32 s25, exec_lo
	v_cmpx_eq_u16_e32 0x80, v98
; %bb.290:                              ;   in Loop: Header=BB4_131 Depth=3
	s_xor_b32 s11, exec_lo, -1
; %bb.291:                              ;   in Loop: Header=BB4_131 Depth=3
	s_or_b32 exec_lo, exec_lo, s25
	s_and_b32 s11, s11, exec_lo
                                        ; implicit-def: $vgpr98
	s_or_saveexec_b32 s24, s24
	v_mov_b32_e32 v23, 0x7f800001
	s_xor_b32 exec_lo, exec_lo, s24
	s_cbranch_execz .LBB4_181
.LBB4_292:                              ;   in Loop: Header=BB4_131 Depth=3
	v_cmp_ne_u16_e32 vcc_lo, 0, v98
	v_mov_b32_e32 v23, 0
	s_andn2_b32 s11, s11, exec_lo
	s_and_b32 s25, vcc_lo, exec_lo
	s_or_b32 s11, s11, s25
	s_or_b32 exec_lo, exec_lo, s24
	s_and_saveexec_b32 s24, s11
	s_cbranch_execnz .LBB4_182
	s_branch .LBB4_183
.LBB4_293:                              ;   in Loop: Header=BB4_131 Depth=3
	s_mov_b32 s11, -1
	s_mov_b32 s25, exec_lo
	v_cmpx_eq_u16_e32 0x80, v99
; %bb.294:                              ;   in Loop: Header=BB4_131 Depth=3
	s_xor_b32 s11, exec_lo, -1
; %bb.295:                              ;   in Loop: Header=BB4_131 Depth=3
	s_or_b32 exec_lo, exec_lo, s25
	s_and_b32 s11, s11, exec_lo
                                        ; implicit-def: $vgpr99
	s_or_saveexec_b32 s24, s24
	v_mov_b32_e32 v98, 0x7f800001
	s_xor_b32 exec_lo, exec_lo, s24
	s_cbranch_execz .LBB4_185
.LBB4_296:                              ;   in Loop: Header=BB4_131 Depth=3
	v_cmp_ne_u16_e32 vcc_lo, 0, v99
	v_mov_b32_e32 v98, 0
	s_andn2_b32 s11, s11, exec_lo
	s_and_b32 s25, vcc_lo, exec_lo
	s_or_b32 s11, s11, s25
	s_or_b32 exec_lo, exec_lo, s24
	s_and_saveexec_b32 s24, s11
	s_cbranch_execnz .LBB4_186
	s_branch .LBB4_187
.LBB4_297:                              ;   in Loop: Header=BB4_131 Depth=3
	v_cmp_eq_u16_sdwa s26, v20, v41 src0_sel:BYTE_3 src1_sel:DWORD
	s_mov_b32 s11, -1
	s_and_saveexec_b32 s25, s26
; %bb.298:                              ;   in Loop: Header=BB4_131 Depth=3
	s_xor_b32 s11, exec_lo, -1
; %bb.299:                              ;   in Loop: Header=BB4_131 Depth=3
	s_or_b32 exec_lo, exec_lo, s25
	s_and_b32 s11, s11, exec_lo
	s_or_saveexec_b32 s24, s24
	v_mov_b32_e32 v98, 0x7f800001
	s_xor_b32 exec_lo, exec_lo, s24
	s_cbranch_execz .LBB4_197
.LBB4_300:                              ;   in Loop: Header=BB4_131 Depth=3
	v_cmp_ne_u16_sdwa s25, v20, v55 src0_sel:BYTE_3 src1_sel:DWORD
	v_mov_b32_e32 v98, 0
	s_andn2_b32 s11, s11, exec_lo
	s_and_b32 s25, s25, exec_lo
	s_or_b32 s11, s11, s25
	s_or_b32 exec_lo, exec_lo, s24
	s_and_saveexec_b32 s24, s11
	s_cbranch_execnz .LBB4_198
	s_branch .LBB4_199
.LBB4_301:                              ;   in Loop: Header=BB4_131 Depth=3
	v_cmp_eq_u16_sdwa s26, v85, v41 src0_sel:BYTE_3 src1_sel:DWORD
	s_mov_b32 s11, -1
	s_and_saveexec_b32 s25, s26
; %bb.302:                              ;   in Loop: Header=BB4_131 Depth=3
	s_xor_b32 s11, exec_lo, -1
; %bb.303:                              ;   in Loop: Header=BB4_131 Depth=3
	s_or_b32 exec_lo, exec_lo, s25
	s_and_b32 s11, s11, exec_lo
	s_or_saveexec_b32 s24, s24
	v_mov_b32_e32 v20, 0x7f800001
	s_xor_b32 exec_lo, exec_lo, s24
	s_cbranch_execz .LBB4_201
.LBB4_304:                              ;   in Loop: Header=BB4_131 Depth=3
	v_cmp_ne_u16_sdwa s25, v85, v55 src0_sel:BYTE_3 src1_sel:DWORD
	v_mov_b32_e32 v20, 0
	s_andn2_b32 s11, s11, exec_lo
	s_and_b32 s25, s25, exec_lo
	s_or_b32 s11, s11, s25
	s_or_b32 exec_lo, exec_lo, s24
	s_and_saveexec_b32 s24, s11
	s_cbranch_execnz .LBB4_202
	s_branch .LBB4_203
.LBB4_305:                              ;   in Loop: Header=BB4_131 Depth=3
	v_cmp_eq_u16_sdwa s26, v22, v41 src0_sel:BYTE_0 src1_sel:DWORD
	s_mov_b32 s11, -1
	s_and_saveexec_b32 s25, s26
; %bb.306:                              ;   in Loop: Header=BB4_131 Depth=3
	s_xor_b32 s11, exec_lo, -1
; %bb.307:                              ;   in Loop: Header=BB4_131 Depth=3
	s_or_b32 exec_lo, exec_lo, s25
	s_and_b32 s11, s11, exec_lo
	s_or_saveexec_b32 s24, s24
	v_mov_b32_e32 v85, 0x7f800001
	s_xor_b32 exec_lo, exec_lo, s24
	s_cbranch_execz .LBB4_213
.LBB4_308:                              ;   in Loop: Header=BB4_131 Depth=3
	v_cmp_ne_u16_sdwa s25, v22, v55 src0_sel:BYTE_0 src1_sel:DWORD
	v_mov_b32_e32 v85, 0
	s_andn2_b32 s11, s11, exec_lo
	s_and_b32 s25, s25, exec_lo
	s_or_b32 s11, s11, s25
	s_or_b32 exec_lo, exec_lo, s24
	s_and_saveexec_b32 s24, s11
	s_cbranch_execnz .LBB4_214
	s_branch .LBB4_215
.LBB4_309:                              ;   in Loop: Header=BB4_131 Depth=3
	v_cmp_eq_u16_sdwa s26, v54, v41 src0_sel:BYTE_0 src1_sel:DWORD
	s_mov_b32 s11, -1
	s_and_saveexec_b32 s25, s26
; %bb.310:                              ;   in Loop: Header=BB4_131 Depth=3
	s_xor_b32 s11, exec_lo, -1
; %bb.311:                              ;   in Loop: Header=BB4_131 Depth=3
	s_or_b32 exec_lo, exec_lo, s25
	s_and_b32 s11, s11, exec_lo
	s_or_saveexec_b32 s24, s24
	v_mov_b32_e32 v98, 0x7f800001
	s_xor_b32 exec_lo, exec_lo, s24
	s_cbranch_execz .LBB4_217
.LBB4_312:                              ;   in Loop: Header=BB4_131 Depth=3
	v_cmp_ne_u16_sdwa s25, v54, v55 src0_sel:BYTE_0 src1_sel:DWORD
	v_mov_b32_e32 v98, 0
	s_andn2_b32 s11, s11, exec_lo
	s_and_b32 s25, s25, exec_lo
	s_or_b32 s11, s11, s25
	s_or_b32 exec_lo, exec_lo, s24
	s_and_saveexec_b32 s24, s11
	s_cbranch_execnz .LBB4_218
	s_branch .LBB4_219
.LBB4_313:                              ;   in Loop: Header=BB4_131 Depth=3
	v_cmp_eq_u16_sdwa s26, v22, v41 src0_sel:BYTE_1 src1_sel:DWORD
	s_mov_b32 s11, -1
	s_and_saveexec_b32 s25, s26
; %bb.314:                              ;   in Loop: Header=BB4_131 Depth=3
	s_xor_b32 s11, exec_lo, -1
; %bb.315:                              ;   in Loop: Header=BB4_131 Depth=3
	s_or_b32 exec_lo, exec_lo, s25
	s_and_b32 s11, s11, exec_lo
	s_or_saveexec_b32 s24, s24
	v_mov_b32_e32 v98, 0x7f800001
	s_xor_b32 exec_lo, exec_lo, s24
	s_cbranch_execz .LBB4_229
.LBB4_316:                              ;   in Loop: Header=BB4_131 Depth=3
	v_cmp_ne_u16_sdwa s25, v22, v55 src0_sel:BYTE_1 src1_sel:DWORD
	v_mov_b32_e32 v98, 0
	s_andn2_b32 s11, s11, exec_lo
	s_and_b32 s25, s25, exec_lo
	s_or_b32 s11, s11, s25
	s_or_b32 exec_lo, exec_lo, s24
	s_and_saveexec_b32 s24, s11
	s_cbranch_execnz .LBB4_230
	s_branch .LBB4_231
.LBB4_317:                              ;   in Loop: Header=BB4_131 Depth=3
	v_cmp_eq_u16_sdwa s26, v54, v41 src0_sel:BYTE_1 src1_sel:DWORD
	s_mov_b32 s11, -1
	s_and_saveexec_b32 s25, s26
; %bb.318:                              ;   in Loop: Header=BB4_131 Depth=3
	s_xor_b32 s11, exec_lo, -1
; %bb.319:                              ;   in Loop: Header=BB4_131 Depth=3
	s_or_b32 exec_lo, exec_lo, s25
	s_and_b32 s11, s11, exec_lo
	s_or_saveexec_b32 s24, s24
	v_mov_b32_e32 v99, 0x7f800001
	s_xor_b32 exec_lo, exec_lo, s24
	s_cbranch_execz .LBB4_233
.LBB4_320:                              ;   in Loop: Header=BB4_131 Depth=3
	v_cmp_ne_u16_sdwa s25, v54, v55 src0_sel:BYTE_1 src1_sel:DWORD
	v_mov_b32_e32 v99, 0
	s_andn2_b32 s11, s11, exec_lo
	s_and_b32 s25, s25, exec_lo
	s_or_b32 s11, s11, s25
	s_or_b32 exec_lo, exec_lo, s24
	s_and_saveexec_b32 s24, s11
	s_cbranch_execnz .LBB4_234
	s_branch .LBB4_235
.LBB4_321:                              ;   in Loop: Header=BB4_131 Depth=3
	s_mov_b32 s11, -1
	s_mov_b32 s25, exec_lo
	v_cmpx_eq_u16_e32 0x80, v73
; %bb.322:                              ;   in Loop: Header=BB4_131 Depth=3
	s_xor_b32 s11, exec_lo, -1
; %bb.323:                              ;   in Loop: Header=BB4_131 Depth=3
	s_or_b32 exec_lo, exec_lo, s25
	s_and_b32 s11, s11, exec_lo
                                        ; implicit-def: $vgpr73
	s_or_saveexec_b32 s24, s24
	v_mov_b32_e32 v99, 0x7f800001
	s_xor_b32 exec_lo, exec_lo, s24
	s_cbranch_execz .LBB4_245
.LBB4_324:                              ;   in Loop: Header=BB4_131 Depth=3
	v_cmp_ne_u16_e32 vcc_lo, 0, v73
	v_mov_b32_e32 v99, 0
	s_andn2_b32 s11, s11, exec_lo
	s_and_b32 s25, vcc_lo, exec_lo
	s_or_b32 s11, s11, s25
	s_or_b32 exec_lo, exec_lo, s24
	s_and_saveexec_b32 s24, s11
	s_cbranch_execnz .LBB4_246
	s_branch .LBB4_247
.LBB4_325:                              ;   in Loop: Header=BB4_131 Depth=3
	s_mov_b32 s11, -1
	s_mov_b32 s25, exec_lo
	v_cmpx_eq_u16_e32 0x80, v74
; %bb.326:                              ;   in Loop: Header=BB4_131 Depth=3
	s_xor_b32 s11, exec_lo, -1
; %bb.327:                              ;   in Loop: Header=BB4_131 Depth=3
	s_or_b32 exec_lo, exec_lo, s25
	s_and_b32 s11, s11, exec_lo
                                        ; implicit-def: $vgpr74
	s_or_saveexec_b32 s24, s24
	v_mov_b32_e32 v73, 0x7f800001
	s_xor_b32 exec_lo, exec_lo, s24
	s_cbranch_execz .LBB4_249
.LBB4_328:                              ;   in Loop: Header=BB4_131 Depth=3
	v_cmp_ne_u16_e32 vcc_lo, 0, v74
	v_mov_b32_e32 v73, 0
	s_andn2_b32 s11, s11, exec_lo
	s_and_b32 s25, vcc_lo, exec_lo
	s_or_b32 s11, s11, s25
	s_or_b32 exec_lo, exec_lo, s24
	s_and_saveexec_b32 s24, s11
	s_cbranch_execnz .LBB4_250
	s_branch .LBB4_251
.LBB4_329:                              ;   in Loop: Header=BB4_131 Depth=3
	v_cmp_eq_u16_sdwa s26, v22, v41 src0_sel:BYTE_3 src1_sel:DWORD
	s_mov_b32 s11, -1
	s_and_saveexec_b32 s25, s26
; %bb.330:                              ;   in Loop: Header=BB4_131 Depth=3
	s_xor_b32 s11, exec_lo, -1
; %bb.331:                              ;   in Loop: Header=BB4_131 Depth=3
	s_or_b32 exec_lo, exec_lo, s25
	s_and_b32 s11, s11, exec_lo
	s_or_saveexec_b32 s24, s24
	v_mov_b32_e32 v73, 0x7f800001
	s_xor_b32 exec_lo, exec_lo, s24
	s_cbranch_execz .LBB4_261
.LBB4_332:                              ;   in Loop: Header=BB4_131 Depth=3
	v_cmp_ne_u16_sdwa s25, v22, v55 src0_sel:BYTE_3 src1_sel:DWORD
	v_mov_b32_e32 v73, 0
	s_andn2_b32 s11, s11, exec_lo
	s_and_b32 s25, s25, exec_lo
	s_or_b32 s11, s11, s25
	s_or_b32 exec_lo, exec_lo, s24
	s_and_saveexec_b32 s24, s11
	s_cbranch_execnz .LBB4_262
	s_branch .LBB4_263
.LBB4_333:                              ;   in Loop: Header=BB4_131 Depth=3
	v_cmp_eq_u16_sdwa s26, v54, v41 src0_sel:BYTE_3 src1_sel:DWORD
	s_mov_b32 s11, -1
	s_and_saveexec_b32 s25, s26
; %bb.334:                              ;   in Loop: Header=BB4_131 Depth=3
	s_xor_b32 s11, exec_lo, -1
; %bb.335:                              ;   in Loop: Header=BB4_131 Depth=3
	s_or_b32 exec_lo, exec_lo, s25
	s_and_b32 s11, s11, exec_lo
	s_or_saveexec_b32 s24, s24
	v_mov_b32_e32 v22, 0x7f800001
	s_xor_b32 exec_lo, exec_lo, s24
	s_cbranch_execz .LBB4_265
.LBB4_336:                              ;   in Loop: Header=BB4_131 Depth=3
	v_cmp_ne_u16_sdwa s25, v54, v55 src0_sel:BYTE_3 src1_sel:DWORD
	v_mov_b32_e32 v22, 0
	s_andn2_b32 s11, s11, exec_lo
	s_and_b32 s25, s25, exec_lo
	s_or_b32 s11, s11, s25
	s_or_b32 exec_lo, exec_lo, s24
	s_and_saveexec_b32 s24, s11
	s_cbranch_execnz .LBB4_266
	s_branch .LBB4_267
.LBB4_337:                              ;   in Loop: Header=BB4_85 Depth=2
	s_or_b32 exec_lo, exec_lo, s23
	s_or_b32 exec_lo, exec_lo, s12
	s_and_saveexec_b32 s11, s7
	s_cbranch_execz .LBB4_122
.LBB4_338:                              ;   in Loop: Header=BB4_85 Depth=2
	s_and_saveexec_b32 s12, s19
	s_xor_b32 s12, exec_lo, s12
	s_cbranch_execz .LBB4_353
; %bb.339:                              ;   in Loop: Header=BB4_85 Depth=2
	s_and_saveexec_b32 s23, s8
	s_cbranch_execz .LBB4_352
; %bb.340:                              ;   in Loop: Header=BB4_85 Depth=2
	s_mov_b32 s25, exec_lo
	s_mov_b32 s24, exec_lo
	v_mbcnt_lo_u32_b32 v18, s25, 0
	s_waitcnt vmcnt(0) lgkmcnt(0)
	s_waitcnt_vscnt null, 0x0
	buffer_gl1_inv
	buffer_gl0_inv
	v_cmpx_eq_u32_e32 0, v18
	s_cbranch_execz .LBB4_342
; %bb.341:                              ;   in Loop: Header=BB4_85 Depth=2
	s_bcnt1_i32_b32 s25, s25
	v_mov_b32_e32 v54, s25
	ds_add_u64 v0, v[54:55]
	s_trap 2
.LBB4_342:                              ;   in Loop: Header=BB4_85 Depth=2
	s_or_b32 exec_lo, exec_lo, s24
	s_trap 2
	ds_read_b64 v[20:21], v0
	s_waitcnt lgkmcnt(0)
	buffer_gl0_inv
	v_add_co_u32 v2, vcc_lo, v2, v102
	v_add_co_ci_u32_e64 v3, null, 0, v3, vcc_lo
	s_mov_b32 s24, exec_lo
	v_cmpx_lt_u64_e64 v[20:21], v[2:3]
	s_cbranch_execz .LBB4_351
; %bb.343:                              ;   in Loop: Header=BB4_85 Depth=2
	s_mov_b32 s25, 0
	s_mov_b32 s28, 0
                                        ; implicit-def: $sgpr26
                                        ; implicit-def: $sgpr27
	s_inst_prefetch 0x1
	s_branch .LBB4_345
	.p2align	6
.LBB4_344:                              ;   in Loop: Header=BB4_345 Depth=3
	s_or_b32 exec_lo, exec_lo, s40
	s_and_b32 s29, exec_lo, s41
	s_or_b32 s25, s29, s25
	s_andn2_b32 s26, s26, exec_lo
	s_and_b32 s29, s27, exec_lo
	s_or_b32 s26, s26, s29
	s_andn2_b32 exec_lo, exec_lo, s25
	s_cbranch_execz .LBB4_349
.LBB4_345:                              ;   Parent Loop BB4_36 Depth=1
                                        ;     Parent Loop BB4_85 Depth=2
                                        ; =>    This Inner Loop Header: Depth=3
	s_add_i32 s28, s28, 1
	s_cmpk_lg_i32 s28, 0x2710
	s_cselect_b32 s29, -1, 0
	s_and_b32 vcc_lo, exec_lo, s29
	s_cbranch_vccz .LBB4_347
; %bb.346:                              ;   in Loop: Header=BB4_345 Depth=3
	s_mov_b32 s41, -1
	s_or_b32 s27, s27, exec_lo
	s_and_saveexec_b32 s40, s29
	s_cbranch_execz .LBB4_344
	s_branch .LBB4_348
	.p2align	6
.LBB4_347:                              ;   in Loop: Header=BB4_345 Depth=3
	s_trap 2
	ds_read_b64 v[20:21], v0
	s_andn2_b32 s29, s29, exec_lo
	s_mov_b32 s28, 0
	s_waitcnt lgkmcnt(0)
	flat_load_dword v18, v[20:21] glc dlc
	s_waitcnt vmcnt(0) lgkmcnt(0)
	buffer_gl1_inv
	buffer_gl0_inv
	v_cmp_eq_u32_e32 vcc_lo, 0, v18
	s_and_b32 s40, vcc_lo, exec_lo
	s_or_b32 s29, s29, s40
	s_mov_b32 s41, -1
	s_or_b32 s27, s27, exec_lo
	s_and_saveexec_b32 s40, s29
	s_cbranch_execz .LBB4_344
.LBB4_348:                              ;   in Loop: Header=BB4_345 Depth=3
	s_sleep 1
	s_trap 2
	ds_read_b64 v[20:21], v0
	s_waitcnt lgkmcnt(0)
	buffer_gl0_inv
	s_andn2_b32 s27, s27, exec_lo
	v_cmp_ge_u64_e32 vcc_lo, v[20:21], v[2:3]
	s_orn2_b32 s41, vcc_lo, exec_lo
	s_branch .LBB4_344
.LBB4_349:                              ;   in Loop: Header=BB4_85 Depth=2
	s_inst_prefetch 0x2
	s_or_b32 exec_lo, exec_lo, s25
	s_and_saveexec_b32 s25, s26
	s_xor_b32 s25, exec_lo, s25
	s_cbranch_execz .LBB4_351
; %bb.350:                              ;   in Loop: Header=BB4_85 Depth=2
	ds_write_b32 v0, v119
	s_trap 2
.LBB4_351:                              ;   in Loop: Header=BB4_85 Depth=2
	s_or_b32 exec_lo, exec_lo, s24
	;;#ASMSTART
	s_wakeup
	;;#ASMEND
.LBB4_352:                              ;   in Loop: Header=BB4_85 Depth=2
	s_or_b32 exec_lo, exec_lo, s23
.LBB4_353:                              ;   in Loop: Header=BB4_85 Depth=2
	s_andn2_saveexec_b32 s12, s12
	s_cbranch_execz .LBB4_355
; %bb.354:                              ;   in Loop: Header=BB4_85 Depth=2
	s_waitcnt vmcnt(0) lgkmcnt(0)
	s_waitcnt_vscnt null, 0x0
	buffer_gl1_inv
	buffer_gl0_inv
	s_barrier
.LBB4_355:                              ;   in Loop: Header=BB4_85 Depth=2
	s_or_b32 exec_lo, exec_lo, s12
	s_or_b32 exec_lo, exec_lo, s11
	s_and_saveexec_b32 s11, s9
	s_cbranch_execnz .LBB4_123
	s_branch .LBB4_124
.LBB4_356:                              ;   in Loop: Header=BB4_36 Depth=1
	v_mov_b32_e32 v22, v80
	v_mov_b32_e32 v23, v81
	s_and_saveexec_b32 s11, s10
	s_cbranch_execnz .LBB4_359
; %bb.357:                              ;   in Loop: Header=BB4_36 Depth=1
	s_or_b32 exec_lo, exec_lo, s11
	s_and_saveexec_b32 s10, s7
	s_cbranch_execnz .LBB4_588
.LBB4_358:                              ;   in Loop: Header=BB4_36 Depth=1
	s_or_b32 exec_lo, exec_lo, s10
	s_and_saveexec_b32 s10, s9
	s_cbranch_execz .LBB4_35
	s_branch .LBB4_606
.LBB4_359:                              ;   in Loop: Header=BB4_36 Depth=1
	flat_load_dword v54, v[24:25]
	v_and_b32_e32 v18, 7, v36
	s_waitcnt vmcnt(1) lgkmcnt(1)
	v_add_co_u32 v20, vcc_lo, v12, v56
	v_add_co_ci_u32_e64 v21, null, v13, v57, vcc_lo
	v_mul_lo_u32 v18, v18, s18
	v_add_nc_u32_e32 v85, 1, v36
	s_mov_b32 s12, 0
	v_ashrrev_i32_e32 v19, 31, v18
	v_lshlrev_b64 v[18:19], 4, v[18:19]
	s_waitcnt vmcnt(0) lgkmcnt(0)
	v_ashrrev_i32_e32 v80, 31, v54
	v_mul_lo_u32 v82, v100, v54
	v_mad_u64_u32 v[20:21], null, v30, v54, v[20:21]
	v_mul_lo_u32 v54, v30, v80
	v_add_co_u32 v80, vcc_lo, v115, v56
	v_add_co_ci_u32_e64 v81, null, v116, v57, vcc_lo
	v_add_co_u32 v86, vcc_lo, v34, v18
	v_add_co_ci_u32_e64 v87, null, v35, v19, vcc_lo
	v_add3_u32 v21, v82, v21, v54
	v_add_co_u32 v96, vcc_lo, v20, v101
	v_mov_b32_e32 v82, v4
	v_add_co_ci_u32_e64 v97, null, v21, v112, vcc_lo
	s_branch .LBB4_361
.LBB4_360:                              ;   in Loop: Header=BB4_361 Depth=2
	v_sub_nc_u32_e32 v46, v46, v103
	v_add_co_u32 v96, vcc_lo, v96, v103
	v_add_co_ci_u32_e64 v97, null, 0, v97, vcc_lo
	v_cmp_gt_i32_e32 vcc_lo, 1, v46
	v_add_co_u32 v80, s10, v80, v103
	v_add_co_ci_u32_e64 v81, null, 0, v81, s10
	v_add_nc_u32_e32 v82, v82, v1
	s_or_b32 s12, vcc_lo, s12
	s_andn2_b32 exec_lo, exec_lo, s12
	s_cbranch_execz .LBB4_587
.LBB4_361:                              ;   Parent Loop BB4_36 Depth=1
                                        ; =>  This Loop Header: Depth=2
                                        ;       Child Loop BB4_369 Depth 3
	v_and_b32_e32 v18, -4, v96
	v_mov_b32_e32 v19, v97
	v_min_u32_e32 v20, 8, v46
	v_and_b32_e32 v21, 3, v96
	v_mov_b32_e32 v98, 0
	v_mov_b32_e32 v99, 0
	global_load_dword v47, v[18:19], off slc
	s_mov_b32 s10, exec_lo
	v_add_nc_u32_e32 v54, v21, v20
	v_cmpx_lt_u32_e32 4, v54
	s_cbranch_execz .LBB4_363
; %bb.362:                              ;   in Loop: Header=BB4_361 Depth=2
	global_load_dword v99, v[18:19], off offset:4 slc
.LBB4_363:                              ;   in Loop: Header=BB4_361 Depth=2
	s_or_b32 exec_lo, exec_lo, s10
	s_mov_b32 s10, exec_lo
	v_cmpx_lt_u64_e32 8, v[54:55]
	s_cbranch_execz .LBB4_365
; %bb.364:                              ;   in Loop: Header=BB4_361 Depth=2
	global_load_dword v98, v[18:19], off offset:8 slc
.LBB4_365:                              ;   in Loop: Header=BB4_361 Depth=2
	s_or_b32 exec_lo, exec_lo, s10
	v_ashrrev_i32_e32 v83, 31, v82
	s_mov_b32 s22, exec_lo
	v_lshlrev_b64 v[18:19], 4, v[82:83]
	v_add_co_u32 v83, vcc_lo, v86, v18
	v_add_co_ci_u32_e64 v84, null, v87, v19, vcc_lo
	global_load_dwordx4 v[18:21], v[83:84], off slc
	v_cmpx_eq_u32_e32 0, v45
	s_cbranch_execz .LBB4_377
; %bb.366:                              ;   in Loop: Header=BB4_361 Depth=2
	s_waitcnt vmcnt(0)
	v_cmp_ne_u32_e32 vcc_lo, v85, v19
	v_cmp_ne_u32_e64 s10, v85, v21
	v_mov_b32_e32 v45, 0
	s_or_b32 s10, vcc_lo, s10
	s_and_saveexec_b32 s23, s10
	s_cbranch_execz .LBB4_376
; %bb.367:                              ;   in Loop: Header=BB4_361 Depth=2
	s_mov_b32 s27, 1
	s_mov_b32 s25, 0
                                        ; implicit-def: $sgpr24
                                        ; implicit-def: $sgpr26
	s_inst_prefetch 0x1
	s_branch .LBB4_369
	.p2align	6
.LBB4_368:                              ;   in Loop: Header=BB4_369 Depth=3
	s_or_b32 exec_lo, exec_lo, s29
	s_and_b32 s10, exec_lo, s10
	s_or_b32 s25, s10, s25
	s_andn2_b32 s10, s24, exec_lo
	s_and_b32 s24, s26, exec_lo
	s_or_b32 s24, s10, s24
	s_andn2_b32 exec_lo, exec_lo, s25
	s_cbranch_execz .LBB4_373
.LBB4_369:                              ;   Parent Loop BB4_36 Depth=1
                                        ;     Parent Loop BB4_361 Depth=2
                                        ; =>    This Inner Loop Header: Depth=3
	global_load_dwordx4 v[18:21], v[83:84], off slc
	s_add_i32 s27, s27, 1
	s_mov_b32 s10, -1
	s_cmpk_lg_i32 s27, 0x2710
	s_mov_b32 s28, -1
                                        ; implicit-def: $vgpr54
	s_cbranch_scc0 .LBB4_371
; %bb.370:                              ;   in Loop: Header=BB4_369 Depth=3
	s_or_b32 s26, s26, exec_lo
	s_and_saveexec_b32 s29, s28
	s_cbranch_execz .LBB4_368
	s_branch .LBB4_372
	.p2align	6
.LBB4_371:                              ;   in Loop: Header=BB4_369 Depth=3
	s_trap 2
	ds_read_b64 v[56:57], v0
	s_mov_b32 s27, 0
	s_waitcnt vmcnt(0) lgkmcnt(0)
	s_waitcnt_vscnt null, 0x0
	flat_load_dword v54, v[56:57] glc dlc
	s_waitcnt vmcnt(0) lgkmcnt(0)
	buffer_gl1_inv
	buffer_gl0_inv
	v_cmp_eq_u32_e32 vcc_lo, 0, v54
	s_orn2_b32 s28, vcc_lo, exec_lo
	s_or_b32 s26, s26, exec_lo
	s_and_saveexec_b32 s29, s28
	s_cbranch_execz .LBB4_368
.LBB4_372:                              ;   in Loop: Header=BB4_369 Depth=3
	s_waitcnt vmcnt(0)
	v_cmp_eq_u32_e32 vcc_lo, v85, v19
	v_cmp_eq_u32_e64 s10, v85, v21
	s_andn2_b32 s26, s26, exec_lo
	s_and_b32 s10, vcc_lo, s10
	s_orn2_b32 s10, s10, exec_lo
	s_branch .LBB4_368
.LBB4_373:                              ;   in Loop: Header=BB4_361 Depth=2
	s_inst_prefetch 0x2
	s_or_b32 exec_lo, exec_lo, s25
	v_mov_b32_e32 v45, 0
	s_and_saveexec_b32 s10, s24
	s_xor_b32 s10, exec_lo, s10
	s_cbranch_execz .LBB4_375
; %bb.374:                              ;   in Loop: Header=BB4_361 Depth=2
	v_mov_b32_e32 v45, 1
	s_waitcnt vmcnt(0)
	s_waitcnt_vscnt null, 0x0
	ds_write_b32 v0, v54
	s_trap 2
.LBB4_375:                              ;   in Loop: Header=BB4_361 Depth=2
	s_or_b32 exec_lo, exec_lo, s10
.LBB4_376:                              ;   in Loop: Header=BB4_361 Depth=2
	s_or_b32 exec_lo, exec_lo, s23
.LBB4_377:                              ;   in Loop: Header=BB4_361 Depth=2
	s_or_b32 exec_lo, exec_lo, s22
	s_waitcnt vmcnt(0)
	v_cmp_gt_i16_sdwa s22, v18, v40 src0_sel:BYTE_0 src1_sel:DWORD
	s_mov_b32 s10, 0
	s_and_saveexec_b32 s23, s22
	s_xor_b32 s22, exec_lo, s23
	s_cbranch_execnz .LBB4_523
; %bb.378:                              ;   in Loop: Header=BB4_361 Depth=2
	s_or_saveexec_b32 s22, s22
	v_mov_b32_e32 v19, 0x7f800001
	s_xor_b32 exec_lo, exec_lo, s22
	s_cbranch_execnz .LBB4_526
.LBB4_379:                              ;   in Loop: Header=BB4_361 Depth=2
	s_or_b32 exec_lo, exec_lo, s22
	s_and_saveexec_b32 s22, s10
	s_cbranch_execz .LBB4_381
.LBB4_380:                              ;   in Loop: Header=BB4_361 Depth=2
	v_and_b32_e32 v19, 3, v18
	v_bfe_u32 v83, v18, 2, 5
	v_lshlrev_b32_e32 v84, 24, v18
	v_ffbh_u32_e32 v21, v19
	v_cmp_eq_u32_e32 vcc_lo, 0, v83
	v_min_u32_e32 v21, 32, v21
	v_subrev_nc_u32_e32 v54, 29, v21
	v_sub_nc_u32_e32 v21, 30, v21
	v_lshlrev_b32_e32 v54, v54, v18
	v_cndmask_b32_e32 v21, v83, v21, vcc_lo
	v_and_b32_e32 v54, 3, v54
	v_lshl_add_u32 v21, v21, 23, 0x37800000
	v_cndmask_b32_e32 v19, v19, v54, vcc_lo
	v_and_b32_e32 v54, 0x80000000, v84
	v_lshlrev_b32_e32 v19, 21, v19
	v_or3_b32 v19, v54, v21, v19
.LBB4_381:                              ;   in Loop: Header=BB4_361 Depth=2
	s_or_b32 exec_lo, exec_lo, s22
	v_lshlrev_b32_e32 v83, 3, v96
	s_mov_b32 s10, 0
	v_alignbit_b32 v84, v99, v47, v83
	v_cmp_gt_i16_sdwa s22, v84, v40 src0_sel:BYTE_0 src1_sel:DWORD
	s_and_saveexec_b32 s23, s22
	s_xor_b32 s22, exec_lo, s23
	s_cbranch_execnz .LBB4_527
; %bb.382:                              ;   in Loop: Header=BB4_361 Depth=2
	s_or_saveexec_b32 s22, s22
	v_mov_b32_e32 v21, 0x7f800001
	s_xor_b32 exec_lo, exec_lo, s22
	s_cbranch_execnz .LBB4_530
.LBB4_383:                              ;   in Loop: Header=BB4_361 Depth=2
	s_or_b32 exec_lo, exec_lo, s22
	s_and_saveexec_b32 s22, s10
	s_cbranch_execz .LBB4_385
.LBB4_384:                              ;   in Loop: Header=BB4_361 Depth=2
	v_and_b32_e32 v21, 3, v84
	v_bfe_u32 v56, v84, 2, 5
	v_lshlrev_b32_e32 v57, 24, v84
	v_ffbh_u32_e32 v54, v21
	v_cmp_eq_u32_e32 vcc_lo, 0, v56
	v_min_u32_e32 v54, 32, v54
	v_subrev_nc_u32_e32 v47, 29, v54
	v_sub_nc_u32_e32 v54, 30, v54
	v_lshlrev_b32_e32 v47, v47, v84
	v_cndmask_b32_e32 v54, v56, v54, vcc_lo
	v_and_b32_e32 v47, 3, v47
	v_lshl_add_u32 v54, v54, 23, 0x37800000
	v_cndmask_b32_e32 v21, v21, v47, vcc_lo
	v_and_b32_e32 v47, 0x80000000, v57
	v_lshlrev_b32_e32 v21, 21, v21
	v_or3_b32 v21, v47, v54, v21
.LBB4_385:                              ;   in Loop: Header=BB4_361 Depth=2
	s_or_b32 exec_lo, exec_lo, s22
	v_mul_f32_e32 v21, v19, v21
	v_and_b32_e32 v19, 0x7f800000, v21
	v_cmp_ne_u32_e32 vcc_lo, 0x7f800000, v19
	v_mov_b32_e32 v19, 0x80
	s_and_saveexec_b32 s22, vcc_lo
	s_cbranch_execz .LBB4_393
; %bb.386:                              ;   in Loop: Header=BB4_361 Depth=2
	v_mov_b32_e32 v19, 0
	s_mov_b32 s23, exec_lo
	v_cmpx_ne_u32_e32 0, v21
	s_cbranch_execz .LBB4_392
; %bb.387:                              ;   in Loop: Header=BB4_361 Depth=2
	v_bfe_u32 v19, v21, 23, 8
	v_and_b32_e32 v54, 0x7fffff, v21
	v_sub_nc_u32_e32 v47, 0x70, v19
	v_cmp_gt_u32_e32 vcc_lo, 0x71, v19
	v_or_b32_e32 v56, 0x800000, v54
	v_cndmask_b32_e32 v47, 0, v47, vcc_lo
	v_cmp_eq_u32_e32 vcc_lo, 0, v19
	v_add_nc_u32_e32 v19, 0xffffff91, v19
	v_cndmask_b32_e64 v47, v47, 0x6f, vcc_lo
	v_cndmask_b32_e32 v54, v56, v54, vcc_lo
	v_cndmask_b32_e64 v19, v19, 0xffffff92, vcc_lo
	v_lshl_add_u32 v56, 0x200000, v47, -1
	v_lshrrev_b32_e32 v57, v47, v54
	v_lshlrev_b32_e64 v59, v47, 0x100000
	v_add_nc_u32_e32 v47, v47, v19
	v_and_b32_e32 v54, v56, v54
	v_bfe_u32 v58, v57, 21, 1
	v_cmp_eq_u32_e64 s10, v54, v59
	v_add_nc_u32_e32 v56, -1, v58
	v_cndmask_b32_e64 v54, 0, v56, s10
	v_lshrrev_b32_e32 v56, 23, v57
	s_mov_b32 s10, exec_lo
	v_add_nc_u32_e32 v54, v54, v57
	v_xor_b32_e32 v56, 1, v56
	v_and_b32_e32 v19, 0x1fffff, v54
	v_add_nc_u32_e32 v54, v19, v57
                                        ; implicit-def: $vgpr19
	v_cmpx_ne_u32_e64 v47, v56
	s_xor_b32 s10, exec_lo, s10
; %bb.388:                              ;   in Loop: Header=BB4_361 Depth=2
	v_cmp_lt_u32_e32 vcc_lo, 0xffffff, v54
	v_sub_nc_u32_e32 v19, v47, v56
	v_cndmask_b32_e64 v47, 0, 1, vcc_lo
	v_add_co_ci_u32_e64 v19, null, 0, v19, vcc_lo
	v_lshrrev_b32_e32 v54, v47, v54
; %bb.389:                              ;   in Loop: Header=BB4_361 Depth=2
	s_andn2_saveexec_b32 s10, s10
; %bb.390:                              ;   in Loop: Header=BB4_361 Depth=2
	v_bfe_u32 v19, v54, 23, 1
; %bb.391:                              ;   in Loop: Header=BB4_361 Depth=2
	s_or_b32 exec_lo, exec_lo, s10
	v_lshrrev_b32_e32 v54, 21, v54
	v_min_i32_e32 v47, 31, v19
	v_cmp_gt_i32_e32 vcc_lo, 32, v19
	v_and_b32_sdwa v21, v21, v41 dst_sel:DWORD dst_unused:UNUSED_PAD src0_sel:BYTE_3 src1_sel:DWORD
	v_lshlrev_b32_e32 v47, 2, v47
	v_cndmask_b32_e32 v54, 3, v54, vcc_lo
	v_and_b32_e32 v47, 0xfc, v47
	v_and_b32_e32 v56, 3, v54
	v_or_b32_e32 v19, v19, v54
	v_or3_b32 v21, v47, v21, v56
	v_cmp_ne_u32_e32 vcc_lo, 0, v19
	v_cndmask_b32_e32 v19, 0, v21, vcc_lo
.LBB4_392:                              ;   in Loop: Header=BB4_361 Depth=2
	s_or_b32 exec_lo, exec_lo, s23
.LBB4_393:                              ;   in Loop: Header=BB4_361 Depth=2
	s_or_b32 exec_lo, exec_lo, s22
	v_cmp_gt_i16_sdwa s22, v18, v40 src0_sel:BYTE_1 src1_sel:DWORD
	s_mov_b32 s10, 0
	s_and_saveexec_b32 s23, s22
	s_xor_b32 s22, exec_lo, s23
	s_cbranch_execnz .LBB4_531
; %bb.394:                              ;   in Loop: Header=BB4_361 Depth=2
	s_or_saveexec_b32 s22, s22
	v_mov_b32_e32 v21, 0x7f800001
	s_xor_b32 exec_lo, exec_lo, s22
	s_cbranch_execnz .LBB4_534
.LBB4_395:                              ;   in Loop: Header=BB4_361 Depth=2
	s_or_b32 exec_lo, exec_lo, s22
	s_and_saveexec_b32 s22, s10
	s_cbranch_execz .LBB4_397
.LBB4_396:                              ;   in Loop: Header=BB4_361 Depth=2
	v_and_b32_sdwa v21, v42, v18 dst_sel:DWORD dst_unused:UNUSED_PAD src0_sel:DWORD src1_sel:BYTE_1
	v_and_b32_e32 v54, 3, v21
	v_bfe_u32 v57, v21, 2, 5
	v_ffbh_u32_e32 v47, v54
	v_cmp_eq_u32_e32 vcc_lo, 0, v57
	v_min_u32_e32 v47, 32, v47
	v_subrev_nc_u32_e32 v56, 29, v47
	v_sub_nc_u32_e32 v47, 30, v47
	v_lshlrev_b32_e32 v21, v56, v21
	v_lshlrev_b32_sdwa v56, v43, v18 dst_sel:DWORD dst_unused:UNUSED_PAD src0_sel:DWORD src1_sel:BYTE_1
	v_cndmask_b32_e32 v47, v57, v47, vcc_lo
	v_and_b32_e32 v21, 3, v21
	v_lshl_add_u32 v47, v47, 23, 0x37800000
	v_cndmask_b32_e32 v21, v54, v21, vcc_lo
	v_and_b32_e32 v54, 0x80000000, v56
	v_lshlrev_b32_e32 v21, 21, v21
	v_or3_b32 v21, v54, v47, v21
.LBB4_397:                              ;   in Loop: Header=BB4_361 Depth=2
	s_or_b32 exec_lo, exec_lo, s22
	v_cmp_gt_i16_sdwa s22, v84, v40 src0_sel:BYTE_1 src1_sel:DWORD
	s_mov_b32 s10, 0
	s_and_saveexec_b32 s23, s22
	s_xor_b32 s22, exec_lo, s23
	s_cbranch_execnz .LBB4_535
; %bb.398:                              ;   in Loop: Header=BB4_361 Depth=2
	s_or_saveexec_b32 s22, s22
	v_mov_b32_e32 v54, 0x7f800001
	s_xor_b32 exec_lo, exec_lo, s22
	s_cbranch_execnz .LBB4_538
.LBB4_399:                              ;   in Loop: Header=BB4_361 Depth=2
	s_or_b32 exec_lo, exec_lo, s22
	s_and_saveexec_b32 s22, s10
	s_cbranch_execz .LBB4_401
.LBB4_400:                              ;   in Loop: Header=BB4_361 Depth=2
	v_and_b32_sdwa v54, v42, v84 dst_sel:DWORD dst_unused:UNUSED_PAD src0_sel:DWORD src1_sel:BYTE_1
	v_and_b32_e32 v47, 3, v54
	v_bfe_u32 v58, v54, 2, 5
	v_ffbh_u32_e32 v56, v47
	v_cmp_eq_u32_e32 vcc_lo, 0, v58
	v_min_u32_e32 v56, 32, v56
	v_subrev_nc_u32_e32 v57, 29, v56
	v_sub_nc_u32_e32 v56, 30, v56
	v_lshlrev_b32_e32 v54, v57, v54
	v_lshlrev_b32_sdwa v57, v43, v84 dst_sel:DWORD dst_unused:UNUSED_PAD src0_sel:DWORD src1_sel:BYTE_1
	v_cndmask_b32_e32 v56, v58, v56, vcc_lo
	v_and_b32_e32 v54, 3, v54
	v_lshl_add_u32 v56, v56, 23, 0x37800000
	v_cndmask_b32_e32 v54, v47, v54, vcc_lo
	v_and_b32_e32 v47, 0x80000000, v57
	v_lshlrev_b32_e32 v54, 21, v54
	v_or3_b32 v54, v47, v56, v54
.LBB4_401:                              ;   in Loop: Header=BB4_361 Depth=2
	s_or_b32 exec_lo, exec_lo, s22
	v_mul_f32_e32 v54, v21, v54
	v_and_b32_e32 v21, 0x7f800000, v54
	v_cmp_ne_u32_e32 vcc_lo, 0x7f800000, v21
	v_mov_b32_e32 v21, 0x8000
	s_and_saveexec_b32 s22, vcc_lo
	s_cbranch_execz .LBB4_409
; %bb.402:                              ;   in Loop: Header=BB4_361 Depth=2
	v_mov_b32_e32 v21, 0
	s_mov_b32 s23, exec_lo
	v_cmpx_ne_u32_e32 0, v54
	s_cbranch_execz .LBB4_408
; %bb.403:                              ;   in Loop: Header=BB4_361 Depth=2
	v_bfe_u32 v21, v54, 23, 8
	v_and_b32_e32 v47, 0x7fffff, v54
	v_sub_nc_u32_e32 v56, 0x70, v21
	v_cmp_gt_u32_e32 vcc_lo, 0x71, v21
	v_or_b32_e32 v57, 0x800000, v47
	v_cndmask_b32_e32 v56, 0, v56, vcc_lo
	v_cmp_eq_u32_e32 vcc_lo, 0, v21
	v_add_nc_u32_e32 v21, 0xffffff91, v21
	v_cndmask_b32_e64 v56, v56, 0x6f, vcc_lo
	v_cndmask_b32_e32 v47, v57, v47, vcc_lo
	v_cndmask_b32_e64 v21, v21, 0xffffff92, vcc_lo
	v_lshl_add_u32 v57, 0x200000, v56, -1
	v_lshrrev_b32_e32 v58, v56, v47
	v_lshlrev_b32_e64 v60, v56, 0x100000
	v_add_nc_u32_e32 v56, v56, v21
	v_and_b32_e32 v47, v57, v47
	v_bfe_u32 v59, v58, 21, 1
	v_cmp_eq_u32_e64 s10, v47, v60
	v_add_nc_u32_e32 v57, -1, v59
	v_cndmask_b32_e64 v47, 0, v57, s10
	v_lshrrev_b32_e32 v57, 23, v58
	s_mov_b32 s10, exec_lo
	v_add_nc_u32_e32 v47, v47, v58
	v_xor_b32_e32 v57, 1, v57
	v_and_b32_e32 v21, 0x1fffff, v47
	v_add_nc_u32_e32 v47, v21, v58
                                        ; implicit-def: $vgpr21
	v_cmpx_ne_u32_e64 v56, v57
	s_xor_b32 s10, exec_lo, s10
; %bb.404:                              ;   in Loop: Header=BB4_361 Depth=2
	v_cmp_lt_u32_e32 vcc_lo, 0xffffff, v47
	v_sub_nc_u32_e32 v21, v56, v57
	v_cndmask_b32_e64 v56, 0, 1, vcc_lo
	v_add_co_ci_u32_e64 v21, null, 0, v21, vcc_lo
	v_lshrrev_b32_e32 v47, v56, v47
; %bb.405:                              ;   in Loop: Header=BB4_361 Depth=2
	s_andn2_saveexec_b32 s10, s10
; %bb.406:                              ;   in Loop: Header=BB4_361 Depth=2
	v_bfe_u32 v21, v47, 23, 1
; %bb.407:                              ;   in Loop: Header=BB4_361 Depth=2
	s_or_b32 exec_lo, exec_lo, s10
	v_lshrrev_b32_e32 v47, 21, v47
	v_min_i32_e32 v56, 31, v21
	v_cmp_gt_i32_e32 vcc_lo, 32, v21
	v_and_b32_sdwa v54, v54, v41 dst_sel:DWORD dst_unused:UNUSED_PAD src0_sel:BYTE_3 src1_sel:DWORD
	v_lshlrev_b32_e32 v56, 2, v56
	v_cndmask_b32_e32 v47, 3, v47, vcc_lo
	v_and_b32_e32 v56, 0xfc, v56
	v_and_b32_e32 v57, 3, v47
	v_or_b32_e32 v21, v21, v47
	v_or3_b32 v54, v54, v56, v57
	v_cmp_ne_u32_e32 vcc_lo, 0, v21
	v_lshlrev_b32_e32 v54, 8, v54
	v_cndmask_b32_e32 v21, 0, v54, vcc_lo
.LBB4_408:                              ;   in Loop: Header=BB4_361 Depth=2
	s_or_b32 exec_lo, exec_lo, s23
.LBB4_409:                              ;   in Loop: Header=BB4_361 Depth=2
	s_or_b32 exec_lo, exec_lo, s22
	v_and_b32_sdwa v47, v18, v44 dst_sel:DWORD dst_unused:UNUSED_PAD src0_sel:WORD_1 src1_sel:DWORD
	s_mov_b32 s10, 0
	s_mov_b32 s22, exec_lo
	v_cmpx_lt_i16_e32 0x7f, v47
	s_xor_b32 s22, exec_lo, s22
	s_cbranch_execnz .LBB4_539
; %bb.410:                              ;   in Loop: Header=BB4_361 Depth=2
	s_or_saveexec_b32 s22, s22
	v_mov_b32_e32 v54, 0x7f800001
	s_xor_b32 exec_lo, exec_lo, s22
	s_cbranch_execnz .LBB4_542
.LBB4_411:                              ;   in Loop: Header=BB4_361 Depth=2
	s_or_b32 exec_lo, exec_lo, s22
	s_and_saveexec_b32 s22, s10
	s_cbranch_execz .LBB4_413
.LBB4_412:                              ;   in Loop: Header=BB4_361 Depth=2
	v_bfe_u32 v54, v18, 16, 2
	v_bfe_u32 v57, v18, 18, 5
	v_lshlrev_b32_e32 v58, 8, v18
	v_ffbh_u32_e32 v47, v54
	v_cmp_eq_u32_e32 vcc_lo, 0, v57
	v_min_u32_e32 v47, 32, v47
	v_subrev_nc_u32_e32 v56, 29, v47
	v_sub_nc_u32_e32 v47, 30, v47
	v_lshlrev_b32_sdwa v56, v56, v18 dst_sel:DWORD dst_unused:UNUSED_PAD src0_sel:DWORD src1_sel:WORD_1
	v_cndmask_b32_e32 v47, v57, v47, vcc_lo
	v_and_b32_e32 v56, 3, v56
	v_lshl_add_u32 v47, v47, 23, 0x37800000
	v_cndmask_b32_e32 v54, v54, v56, vcc_lo
	v_and_b32_e32 v56, 0x80000000, v58
	v_lshlrev_b32_e32 v54, 21, v54
	v_or3_b32 v54, v56, v47, v54
.LBB4_413:                              ;   in Loop: Header=BB4_361 Depth=2
	s_or_b32 exec_lo, exec_lo, s22
	v_and_b32_sdwa v56, v84, v44 dst_sel:DWORD dst_unused:UNUSED_PAD src0_sel:WORD_1 src1_sel:DWORD
	s_mov_b32 s10, 0
	s_mov_b32 s22, exec_lo
	v_cmpx_lt_i16_e32 0x7f, v56
	s_xor_b32 s22, exec_lo, s22
	s_cbranch_execnz .LBB4_543
; %bb.414:                              ;   in Loop: Header=BB4_361 Depth=2
	s_or_saveexec_b32 s22, s22
	v_mov_b32_e32 v47, 0x7f800001
	s_xor_b32 exec_lo, exec_lo, s22
	s_cbranch_execnz .LBB4_546
.LBB4_415:                              ;   in Loop: Header=BB4_361 Depth=2
	s_or_b32 exec_lo, exec_lo, s22
	s_and_saveexec_b32 s22, s10
	s_cbranch_execz .LBB4_417
.LBB4_416:                              ;   in Loop: Header=BB4_361 Depth=2
	v_bfe_u32 v47, v84, 16, 2
	v_bfe_u32 v58, v84, 18, 5
	v_lshlrev_b32_e32 v59, 8, v84
	v_ffbh_u32_e32 v56, v47
	v_cmp_eq_u32_e32 vcc_lo, 0, v58
	v_min_u32_e32 v56, 32, v56
	v_subrev_nc_u32_e32 v57, 29, v56
	v_sub_nc_u32_e32 v56, 30, v56
	v_lshlrev_b32_sdwa v57, v57, v84 dst_sel:DWORD dst_unused:UNUSED_PAD src0_sel:DWORD src1_sel:WORD_1
	v_cndmask_b32_e32 v56, v58, v56, vcc_lo
	v_and_b32_e32 v57, 3, v57
	v_lshl_add_u32 v56, v56, 23, 0x37800000
	v_cndmask_b32_e32 v47, v47, v57, vcc_lo
	v_and_b32_e32 v57, 0x80000000, v59
	v_lshlrev_b32_e32 v47, 21, v47
	v_or3_b32 v47, v57, v56, v47
.LBB4_417:                              ;   in Loop: Header=BB4_361 Depth=2
	s_or_b32 exec_lo, exec_lo, s22
	v_mul_f32_e32 v47, v54, v47
	v_and_b32_e32 v54, 0x7f800000, v47
	v_cmp_ne_u32_e32 vcc_lo, 0x7f800000, v54
	v_mov_b32_e32 v54, 0x80
	s_and_saveexec_b32 s22, vcc_lo
	s_cbranch_execz .LBB4_425
; %bb.418:                              ;   in Loop: Header=BB4_361 Depth=2
	v_mov_b32_e32 v54, 0
	s_mov_b32 s23, exec_lo
	v_cmpx_ne_u32_e32 0, v47
	s_cbranch_execz .LBB4_424
; %bb.419:                              ;   in Loop: Header=BB4_361 Depth=2
	v_bfe_u32 v54, v47, 23, 8
	v_and_b32_e32 v56, 0x7fffff, v47
	v_sub_nc_u32_e32 v57, 0x70, v54
	v_cmp_gt_u32_e32 vcc_lo, 0x71, v54
	v_or_b32_e32 v58, 0x800000, v56
	v_cndmask_b32_e32 v57, 0, v57, vcc_lo
	v_cmp_eq_u32_e32 vcc_lo, 0, v54
	v_add_nc_u32_e32 v54, 0xffffff91, v54
	v_cndmask_b32_e64 v57, v57, 0x6f, vcc_lo
	v_cndmask_b32_e32 v56, v58, v56, vcc_lo
	v_cndmask_b32_e64 v54, v54, 0xffffff92, vcc_lo
	v_lshl_add_u32 v58, 0x200000, v57, -1
	v_lshrrev_b32_e32 v59, v57, v56
	v_lshlrev_b32_e64 v61, v57, 0x100000
	v_add_nc_u32_e32 v57, v57, v54
	v_and_b32_e32 v56, v58, v56
	v_bfe_u32 v60, v59, 21, 1
	v_cmp_eq_u32_e64 s10, v56, v61
	v_add_nc_u32_e32 v58, -1, v60
	v_cndmask_b32_e64 v56, 0, v58, s10
	v_lshrrev_b32_e32 v58, 23, v59
	s_mov_b32 s10, exec_lo
	v_add_nc_u32_e32 v56, v56, v59
	v_xor_b32_e32 v58, 1, v58
	v_and_b32_e32 v54, 0x1fffff, v56
	v_add_nc_u32_e32 v56, v54, v59
                                        ; implicit-def: $vgpr54
	v_cmpx_ne_u32_e64 v57, v58
	s_xor_b32 s10, exec_lo, s10
; %bb.420:                              ;   in Loop: Header=BB4_361 Depth=2
	v_cmp_lt_u32_e32 vcc_lo, 0xffffff, v56
	v_sub_nc_u32_e32 v54, v57, v58
	v_cndmask_b32_e64 v57, 0, 1, vcc_lo
	v_add_co_ci_u32_e64 v54, null, 0, v54, vcc_lo
	v_lshrrev_b32_e32 v56, v57, v56
; %bb.421:                              ;   in Loop: Header=BB4_361 Depth=2
	s_andn2_saveexec_b32 s10, s10
; %bb.422:                              ;   in Loop: Header=BB4_361 Depth=2
	v_bfe_u32 v54, v56, 23, 1
; %bb.423:                              ;   in Loop: Header=BB4_361 Depth=2
	s_or_b32 exec_lo, exec_lo, s10
	v_lshrrev_b32_e32 v56, 21, v56
	v_min_i32_e32 v57, 31, v54
	v_cmp_gt_i32_e32 vcc_lo, 32, v54
	v_and_b32_sdwa v47, v47, v41 dst_sel:DWORD dst_unused:UNUSED_PAD src0_sel:BYTE_3 src1_sel:DWORD
	v_lshlrev_b32_e32 v57, 2, v57
	v_cndmask_b32_e32 v56, 3, v56, vcc_lo
	v_and_b32_e32 v57, 0xfc, v57
	v_and_b32_e32 v58, 3, v56
	v_or_b32_e32 v54, v54, v56
	v_or3_b32 v47, v57, v47, v58
	v_cmp_ne_u32_e32 vcc_lo, 0, v54
	v_cndmask_b32_e32 v54, 0, v47, vcc_lo
.LBB4_424:                              ;   in Loop: Header=BB4_361 Depth=2
	s_or_b32 exec_lo, exec_lo, s23
.LBB4_425:                              ;   in Loop: Header=BB4_361 Depth=2
	s_or_b32 exec_lo, exec_lo, s22
	v_cmp_gt_i16_sdwa s22, v18, v40 src0_sel:BYTE_3 src1_sel:DWORD
	s_mov_b32 s10, 0
	s_and_saveexec_b32 s23, s22
	s_xor_b32 s22, exec_lo, s23
	s_cbranch_execnz .LBB4_547
; %bb.426:                              ;   in Loop: Header=BB4_361 Depth=2
	s_or_saveexec_b32 s22, s22
	v_mov_b32_e32 v47, 0x7f800001
	s_xor_b32 exec_lo, exec_lo, s22
	s_cbranch_execnz .LBB4_550
.LBB4_427:                              ;   in Loop: Header=BB4_361 Depth=2
	s_or_b32 exec_lo, exec_lo, s22
	s_and_saveexec_b32 s22, s10
	s_cbranch_execz .LBB4_429
.LBB4_428:                              ;   in Loop: Header=BB4_361 Depth=2
	v_bfe_u32 v47, v18, 24, 2
	v_bfe_u32 v58, v18, 26, 5
	v_ffbh_u32_e32 v56, v47
	v_cmp_eq_u32_e32 vcc_lo, 0, v58
	v_min_u32_e32 v56, 32, v56
	v_subrev_nc_u32_e32 v57, 29, v56
	v_sub_nc_u32_e32 v56, 30, v56
	v_lshlrev_b32_sdwa v57, v57, v18 dst_sel:DWORD dst_unused:UNUSED_PAD src0_sel:DWORD src1_sel:BYTE_3
	v_cndmask_b32_e32 v56, v58, v56, vcc_lo
	v_and_b32_e32 v18, 0x80000000, v18
	v_and_b32_e32 v57, 3, v57
	v_lshl_add_u32 v56, v56, 23, 0x37800000
	v_cndmask_b32_e32 v47, v47, v57, vcc_lo
	v_lshlrev_b32_e32 v47, 21, v47
	v_or3_b32 v47, v18, v56, v47
.LBB4_429:                              ;   in Loop: Header=BB4_361 Depth=2
	s_or_b32 exec_lo, exec_lo, s22
	v_cmp_gt_i16_sdwa s22, v84, v40 src0_sel:BYTE_3 src1_sel:DWORD
	s_mov_b32 s10, 0
	s_and_saveexec_b32 s23, s22
	s_xor_b32 s22, exec_lo, s23
	s_cbranch_execnz .LBB4_551
; %bb.430:                              ;   in Loop: Header=BB4_361 Depth=2
	s_or_saveexec_b32 s22, s22
	v_mov_b32_e32 v18, 0x7f800001
	s_xor_b32 exec_lo, exec_lo, s22
	s_cbranch_execnz .LBB4_554
.LBB4_431:                              ;   in Loop: Header=BB4_361 Depth=2
	s_or_b32 exec_lo, exec_lo, s22
	s_and_saveexec_b32 s22, s10
	s_cbranch_execz .LBB4_433
.LBB4_432:                              ;   in Loop: Header=BB4_361 Depth=2
	v_bfe_u32 v18, v84, 24, 2
	v_bfe_u32 v58, v84, 26, 5
	v_ffbh_u32_e32 v56, v18
	v_cmp_eq_u32_e32 vcc_lo, 0, v58
	v_min_u32_e32 v56, 32, v56
	v_subrev_nc_u32_e32 v57, 29, v56
	v_sub_nc_u32_e32 v56, 30, v56
	v_lshlrev_b32_sdwa v57, v57, v84 dst_sel:DWORD dst_unused:UNUSED_PAD src0_sel:DWORD src1_sel:BYTE_3
	v_cndmask_b32_e32 v56, v58, v56, vcc_lo
	v_and_b32_e32 v84, 0x80000000, v84
	v_and_b32_e32 v57, 3, v57
	v_lshl_add_u32 v56, v56, 23, 0x37800000
	v_cndmask_b32_e32 v18, v18, v57, vcc_lo
	v_lshlrev_b32_e32 v18, 21, v18
	v_or3_b32 v18, v84, v56, v18
.LBB4_433:                              ;   in Loop: Header=BB4_361 Depth=2
	s_or_b32 exec_lo, exec_lo, s22
	v_mul_f32_e32 v84, v47, v18
	v_and_b32_e32 v18, 0x7f800000, v84
	v_cmp_ne_u32_e32 vcc_lo, 0x7f800000, v18
	v_mov_b32_e32 v18, 0x8000
	s_and_saveexec_b32 s22, vcc_lo
	s_cbranch_execz .LBB4_441
; %bb.434:                              ;   in Loop: Header=BB4_361 Depth=2
	v_mov_b32_e32 v18, 0
	s_mov_b32 s23, exec_lo
	v_cmpx_ne_u32_e32 0, v84
	s_cbranch_execz .LBB4_440
; %bb.435:                              ;   in Loop: Header=BB4_361 Depth=2
	v_bfe_u32 v18, v84, 23, 8
	v_and_b32_e32 v47, 0x7fffff, v84
	v_sub_nc_u32_e32 v56, 0x70, v18
	v_cmp_gt_u32_e32 vcc_lo, 0x71, v18
	v_or_b32_e32 v57, 0x800000, v47
	v_cndmask_b32_e32 v56, 0, v56, vcc_lo
	v_cmp_eq_u32_e32 vcc_lo, 0, v18
	v_add_nc_u32_e32 v18, 0xffffff91, v18
	v_cndmask_b32_e64 v56, v56, 0x6f, vcc_lo
	v_cndmask_b32_e32 v47, v57, v47, vcc_lo
	v_cndmask_b32_e64 v18, v18, 0xffffff92, vcc_lo
	v_lshl_add_u32 v57, 0x200000, v56, -1
	v_lshrrev_b32_e32 v58, v56, v47
	v_lshlrev_b32_e64 v60, v56, 0x100000
	v_add_nc_u32_e32 v56, v56, v18
	v_and_b32_e32 v47, v57, v47
	v_bfe_u32 v59, v58, 21, 1
	v_cmp_eq_u32_e64 s10, v47, v60
	v_add_nc_u32_e32 v57, -1, v59
	v_cndmask_b32_e64 v47, 0, v57, s10
	v_lshrrev_b32_e32 v57, 23, v58
	s_mov_b32 s10, exec_lo
	v_add_nc_u32_e32 v47, v47, v58
	v_xor_b32_e32 v57, 1, v57
	v_and_b32_e32 v18, 0x1fffff, v47
	v_add_nc_u32_e32 v47, v18, v58
                                        ; implicit-def: $vgpr18
	v_cmpx_ne_u32_e64 v56, v57
	s_xor_b32 s10, exec_lo, s10
; %bb.436:                              ;   in Loop: Header=BB4_361 Depth=2
	v_cmp_lt_u32_e32 vcc_lo, 0xffffff, v47
	v_sub_nc_u32_e32 v18, v56, v57
	v_cndmask_b32_e64 v56, 0, 1, vcc_lo
	v_add_co_ci_u32_e64 v18, null, 0, v18, vcc_lo
	v_lshrrev_b32_e32 v47, v56, v47
; %bb.437:                              ;   in Loop: Header=BB4_361 Depth=2
	s_andn2_saveexec_b32 s10, s10
; %bb.438:                              ;   in Loop: Header=BB4_361 Depth=2
	v_bfe_u32 v18, v47, 23, 1
; %bb.439:                              ;   in Loop: Header=BB4_361 Depth=2
	s_or_b32 exec_lo, exec_lo, s10
	v_lshrrev_b32_e32 v47, 21, v47
	v_min_i32_e32 v56, 31, v18
	v_cmp_gt_i32_e32 vcc_lo, 32, v18
	v_and_b32_sdwa v84, v84, v41 dst_sel:DWORD dst_unused:UNUSED_PAD src0_sel:BYTE_3 src1_sel:DWORD
	v_lshlrev_b32_e32 v56, 2, v56
	v_cndmask_b32_e32 v47, 3, v47, vcc_lo
	v_and_b32_e32 v56, 0xfc, v56
	v_and_b32_e32 v57, 3, v47
	v_or_b32_e32 v18, v18, v47
	v_or3_b32 v84, v84, v56, v57
	v_cmp_ne_u32_e32 vcc_lo, 0, v18
	v_lshlrev_b32_e32 v84, 8, v84
	v_cndmask_b32_e32 v18, 0, v84, vcc_lo
.LBB4_440:                              ;   in Loop: Header=BB4_361 Depth=2
	s_or_b32 exec_lo, exec_lo, s23
.LBB4_441:                              ;   in Loop: Header=BB4_361 Depth=2
	s_or_b32 exec_lo, exec_lo, s22
	v_cmp_gt_i16_sdwa s22, v20, v40 src0_sel:BYTE_0 src1_sel:DWORD
	s_mov_b32 s10, 0
	s_and_saveexec_b32 s23, s22
	s_xor_b32 s22, exec_lo, s23
	s_cbranch_execnz .LBB4_555
; %bb.442:                              ;   in Loop: Header=BB4_361 Depth=2
	s_or_saveexec_b32 s22, s22
	v_mov_b32_e32 v84, 0x7f800001
	s_xor_b32 exec_lo, exec_lo, s22
	s_cbranch_execnz .LBB4_558
.LBB4_443:                              ;   in Loop: Header=BB4_361 Depth=2
	s_or_b32 exec_lo, exec_lo, s22
	s_and_saveexec_b32 s22, s10
	s_cbranch_execz .LBB4_445
.LBB4_444:                              ;   in Loop: Header=BB4_361 Depth=2
	v_and_b32_e32 v84, 3, v20
	v_bfe_u32 v57, v20, 2, 5
	v_lshlrev_b32_e32 v58, 24, v20
	v_ffbh_u32_e32 v47, v84
	v_cmp_eq_u32_e32 vcc_lo, 0, v57
	v_min_u32_e32 v47, 32, v47
	v_subrev_nc_u32_e32 v56, 29, v47
	v_sub_nc_u32_e32 v47, 30, v47
	v_lshlrev_b32_e32 v56, v56, v20
	v_cndmask_b32_e32 v47, v57, v47, vcc_lo
	v_and_b32_e32 v56, 3, v56
	v_lshl_add_u32 v47, v47, 23, 0x37800000
	v_cndmask_b32_e32 v84, v84, v56, vcc_lo
	v_and_b32_e32 v56, 0x80000000, v58
	v_lshlrev_b32_e32 v84, 21, v84
	v_or3_b32 v84, v56, v47, v84
.LBB4_445:                              ;   in Loop: Header=BB4_361 Depth=2
	s_or_b32 exec_lo, exec_lo, s22
	v_alignbit_b32 v83, v98, v99, v83
	s_mov_b32 s10, 0
	v_cmp_gt_i16_sdwa s22, v83, v40 src0_sel:BYTE_0 src1_sel:DWORD
	s_and_saveexec_b32 s23, s22
	s_xor_b32 s22, exec_lo, s23
	s_cbranch_execnz .LBB4_559
; %bb.446:                              ;   in Loop: Header=BB4_361 Depth=2
	s_or_saveexec_b32 s22, s22
	v_mov_b32_e32 v98, 0x7f800001
	s_xor_b32 exec_lo, exec_lo, s22
	s_cbranch_execnz .LBB4_562
.LBB4_447:                              ;   in Loop: Header=BB4_361 Depth=2
	s_or_b32 exec_lo, exec_lo, s22
	s_and_saveexec_b32 s22, s10
	s_cbranch_execz .LBB4_449
.LBB4_448:                              ;   in Loop: Header=BB4_361 Depth=2
	v_and_b32_e32 v98, 3, v83
	v_bfe_u32 v56, v83, 2, 5
	v_lshlrev_b32_e32 v57, 24, v83
	v_ffbh_u32_e32 v99, v98
	v_cmp_eq_u32_e32 vcc_lo, 0, v56
	v_min_u32_e32 v99, 32, v99
	v_subrev_nc_u32_e32 v47, 29, v99
	v_sub_nc_u32_e32 v99, 30, v99
	v_lshlrev_b32_e32 v47, v47, v83
	v_cndmask_b32_e32 v99, v56, v99, vcc_lo
	v_and_b32_e32 v47, 3, v47
	v_lshl_add_u32 v99, v99, 23, 0x37800000
	v_cndmask_b32_e32 v98, v98, v47, vcc_lo
	v_and_b32_e32 v47, 0x80000000, v57
	v_lshlrev_b32_e32 v98, 21, v98
	v_or3_b32 v98, v47, v99, v98
.LBB4_449:                              ;   in Loop: Header=BB4_361 Depth=2
	s_or_b32 exec_lo, exec_lo, s22
	v_mul_f32_e32 v98, v84, v98
	v_and_b32_e32 v84, 0x7f800000, v98
	v_cmp_ne_u32_e32 vcc_lo, 0x7f800000, v84
	v_mov_b32_e32 v84, 0x80
	s_and_saveexec_b32 s22, vcc_lo
	s_cbranch_execz .LBB4_457
; %bb.450:                              ;   in Loop: Header=BB4_361 Depth=2
	v_mov_b32_e32 v84, 0
	s_mov_b32 s23, exec_lo
	v_cmpx_ne_u32_e32 0, v98
	s_cbranch_execz .LBB4_456
; %bb.451:                              ;   in Loop: Header=BB4_361 Depth=2
	v_bfe_u32 v84, v98, 23, 8
	v_and_b32_e32 v99, 0x7fffff, v98
	v_sub_nc_u32_e32 v47, 0x70, v84
	v_cmp_gt_u32_e32 vcc_lo, 0x71, v84
	v_or_b32_e32 v56, 0x800000, v99
	v_cndmask_b32_e32 v47, 0, v47, vcc_lo
	v_cmp_eq_u32_e32 vcc_lo, 0, v84
	v_add_nc_u32_e32 v84, 0xffffff91, v84
	v_cndmask_b32_e64 v47, v47, 0x6f, vcc_lo
	v_cndmask_b32_e32 v99, v56, v99, vcc_lo
	v_cndmask_b32_e64 v84, v84, 0xffffff92, vcc_lo
	v_lshl_add_u32 v56, 0x200000, v47, -1
	v_lshrrev_b32_e32 v57, v47, v99
	v_lshlrev_b32_e64 v59, v47, 0x100000
	v_add_nc_u32_e32 v47, v47, v84
	v_and_b32_e32 v99, v56, v99
	v_bfe_u32 v58, v57, 21, 1
	v_cmp_eq_u32_e64 s10, v99, v59
	v_add_nc_u32_e32 v56, -1, v58
	v_cndmask_b32_e64 v99, 0, v56, s10
	v_lshrrev_b32_e32 v56, 23, v57
	s_mov_b32 s10, exec_lo
	v_add_nc_u32_e32 v99, v99, v57
	v_xor_b32_e32 v56, 1, v56
	v_and_b32_e32 v84, 0x1fffff, v99
	v_add_nc_u32_e32 v99, v84, v57
                                        ; implicit-def: $vgpr84
	v_cmpx_ne_u32_e64 v47, v56
	s_xor_b32 s10, exec_lo, s10
; %bb.452:                              ;   in Loop: Header=BB4_361 Depth=2
	v_cmp_lt_u32_e32 vcc_lo, 0xffffff, v99
	v_sub_nc_u32_e32 v84, v47, v56
	v_cndmask_b32_e64 v47, 0, 1, vcc_lo
	v_add_co_ci_u32_e64 v84, null, 0, v84, vcc_lo
	v_lshrrev_b32_e32 v99, v47, v99
; %bb.453:                              ;   in Loop: Header=BB4_361 Depth=2
	s_andn2_saveexec_b32 s10, s10
; %bb.454:                              ;   in Loop: Header=BB4_361 Depth=2
	v_bfe_u32 v84, v99, 23, 1
; %bb.455:                              ;   in Loop: Header=BB4_361 Depth=2
	s_or_b32 exec_lo, exec_lo, s10
	v_lshrrev_b32_e32 v99, 21, v99
	v_min_i32_e32 v47, 31, v84
	v_cmp_gt_i32_e32 vcc_lo, 32, v84
	v_and_b32_sdwa v98, v98, v41 dst_sel:DWORD dst_unused:UNUSED_PAD src0_sel:BYTE_3 src1_sel:DWORD
	v_lshlrev_b32_e32 v47, 2, v47
	v_cndmask_b32_e32 v99, 3, v99, vcc_lo
	v_and_b32_e32 v47, 0xfc, v47
	v_and_b32_e32 v56, 3, v99
	v_or_b32_e32 v84, v84, v99
	v_or3_b32 v98, v47, v98, v56
	v_cmp_ne_u32_e32 vcc_lo, 0, v84
	v_cndmask_b32_e32 v84, 0, v98, vcc_lo
.LBB4_456:                              ;   in Loop: Header=BB4_361 Depth=2
	s_or_b32 exec_lo, exec_lo, s23
.LBB4_457:                              ;   in Loop: Header=BB4_361 Depth=2
	s_or_b32 exec_lo, exec_lo, s22
	v_cmp_gt_i16_sdwa s22, v20, v40 src0_sel:BYTE_1 src1_sel:DWORD
	s_mov_b32 s10, 0
	s_and_saveexec_b32 s23, s22
	s_xor_b32 s22, exec_lo, s23
	s_cbranch_execnz .LBB4_563
; %bb.458:                              ;   in Loop: Header=BB4_361 Depth=2
	s_or_saveexec_b32 s22, s22
	v_mov_b32_e32 v98, 0x7f800001
	s_xor_b32 exec_lo, exec_lo, s22
	s_cbranch_execnz .LBB4_566
.LBB4_459:                              ;   in Loop: Header=BB4_361 Depth=2
	s_or_b32 exec_lo, exec_lo, s22
	s_and_saveexec_b32 s22, s10
	s_cbranch_execz .LBB4_461
.LBB4_460:                              ;   in Loop: Header=BB4_361 Depth=2
	v_and_b32_sdwa v98, v42, v20 dst_sel:DWORD dst_unused:UNUSED_PAD src0_sel:DWORD src1_sel:BYTE_1
	v_and_b32_e32 v99, 3, v98
	v_bfe_u32 v57, v98, 2, 5
	v_ffbh_u32_e32 v47, v99
	v_cmp_eq_u32_e32 vcc_lo, 0, v57
	v_min_u32_e32 v47, 32, v47
	v_subrev_nc_u32_e32 v56, 29, v47
	v_sub_nc_u32_e32 v47, 30, v47
	v_lshlrev_b32_e32 v98, v56, v98
	v_lshlrev_b32_sdwa v56, v43, v20 dst_sel:DWORD dst_unused:UNUSED_PAD src0_sel:DWORD src1_sel:BYTE_1
	v_cndmask_b32_e32 v47, v57, v47, vcc_lo
	v_and_b32_e32 v98, 3, v98
	v_lshl_add_u32 v47, v47, 23, 0x37800000
	v_cndmask_b32_e32 v98, v99, v98, vcc_lo
	v_and_b32_e32 v99, 0x80000000, v56
	v_lshlrev_b32_e32 v98, 21, v98
	v_or3_b32 v98, v99, v47, v98
.LBB4_461:                              ;   in Loop: Header=BB4_361 Depth=2
	s_or_b32 exec_lo, exec_lo, s22
	v_cmp_gt_i16_sdwa s22, v83, v40 src0_sel:BYTE_1 src1_sel:DWORD
	s_mov_b32 s10, 0
	s_and_saveexec_b32 s23, s22
	s_xor_b32 s22, exec_lo, s23
	s_cbranch_execnz .LBB4_567
; %bb.462:                              ;   in Loop: Header=BB4_361 Depth=2
	s_or_saveexec_b32 s22, s22
	v_mov_b32_e32 v99, 0x7f800001
	s_xor_b32 exec_lo, exec_lo, s22
	s_cbranch_execnz .LBB4_570
.LBB4_463:                              ;   in Loop: Header=BB4_361 Depth=2
	s_or_b32 exec_lo, exec_lo, s22
	s_and_saveexec_b32 s22, s10
	s_cbranch_execz .LBB4_465
.LBB4_464:                              ;   in Loop: Header=BB4_361 Depth=2
	v_and_b32_sdwa v99, v42, v83 dst_sel:DWORD dst_unused:UNUSED_PAD src0_sel:DWORD src1_sel:BYTE_1
	v_and_b32_e32 v47, 3, v99
	v_bfe_u32 v58, v99, 2, 5
	v_ffbh_u32_e32 v56, v47
	v_cmp_eq_u32_e32 vcc_lo, 0, v58
	v_min_u32_e32 v56, 32, v56
	v_subrev_nc_u32_e32 v57, 29, v56
	v_sub_nc_u32_e32 v56, 30, v56
	v_lshlrev_b32_e32 v99, v57, v99
	v_lshlrev_b32_sdwa v57, v43, v83 dst_sel:DWORD dst_unused:UNUSED_PAD src0_sel:DWORD src1_sel:BYTE_1
	v_cndmask_b32_e32 v56, v58, v56, vcc_lo
	v_and_b32_e32 v99, 3, v99
	v_lshl_add_u32 v56, v56, 23, 0x37800000
	v_cndmask_b32_e32 v99, v47, v99, vcc_lo
	v_and_b32_e32 v47, 0x80000000, v57
	v_lshlrev_b32_e32 v99, 21, v99
	v_or3_b32 v99, v47, v56, v99
.LBB4_465:                              ;   in Loop: Header=BB4_361 Depth=2
	s_or_b32 exec_lo, exec_lo, s22
	v_mul_f32_e32 v99, v98, v99
	v_and_b32_e32 v98, 0x7f800000, v99
	v_cmp_ne_u32_e32 vcc_lo, 0x7f800000, v98
	v_mov_b32_e32 v98, 0x8000
	s_and_saveexec_b32 s22, vcc_lo
	s_cbranch_execz .LBB4_473
; %bb.466:                              ;   in Loop: Header=BB4_361 Depth=2
	v_mov_b32_e32 v98, 0
	s_mov_b32 s23, exec_lo
	v_cmpx_ne_u32_e32 0, v99
	s_cbranch_execz .LBB4_472
; %bb.467:                              ;   in Loop: Header=BB4_361 Depth=2
	v_bfe_u32 v98, v99, 23, 8
	v_and_b32_e32 v47, 0x7fffff, v99
	v_sub_nc_u32_e32 v56, 0x70, v98
	v_cmp_gt_u32_e32 vcc_lo, 0x71, v98
	v_or_b32_e32 v57, 0x800000, v47
	v_cndmask_b32_e32 v56, 0, v56, vcc_lo
	v_cmp_eq_u32_e32 vcc_lo, 0, v98
	v_add_nc_u32_e32 v98, 0xffffff91, v98
	v_cndmask_b32_e64 v56, v56, 0x6f, vcc_lo
	v_cndmask_b32_e32 v47, v57, v47, vcc_lo
	v_cndmask_b32_e64 v98, v98, 0xffffff92, vcc_lo
	v_lshl_add_u32 v57, 0x200000, v56, -1
	v_lshrrev_b32_e32 v58, v56, v47
	v_lshlrev_b32_e64 v60, v56, 0x100000
	v_add_nc_u32_e32 v56, v56, v98
	v_and_b32_e32 v47, v57, v47
	v_bfe_u32 v59, v58, 21, 1
	v_cmp_eq_u32_e64 s10, v47, v60
	v_add_nc_u32_e32 v57, -1, v59
	v_cndmask_b32_e64 v47, 0, v57, s10
	v_lshrrev_b32_e32 v57, 23, v58
	s_mov_b32 s10, exec_lo
	v_add_nc_u32_e32 v47, v47, v58
	v_xor_b32_e32 v57, 1, v57
	v_and_b32_e32 v98, 0x1fffff, v47
	v_add_nc_u32_e32 v47, v98, v58
                                        ; implicit-def: $vgpr98
	v_cmpx_ne_u32_e64 v56, v57
	s_xor_b32 s10, exec_lo, s10
; %bb.468:                              ;   in Loop: Header=BB4_361 Depth=2
	v_cmp_lt_u32_e32 vcc_lo, 0xffffff, v47
	v_sub_nc_u32_e32 v98, v56, v57
	v_cndmask_b32_e64 v56, 0, 1, vcc_lo
	v_add_co_ci_u32_e64 v98, null, 0, v98, vcc_lo
	v_lshrrev_b32_e32 v47, v56, v47
; %bb.469:                              ;   in Loop: Header=BB4_361 Depth=2
	s_andn2_saveexec_b32 s10, s10
; %bb.470:                              ;   in Loop: Header=BB4_361 Depth=2
	v_bfe_u32 v98, v47, 23, 1
; %bb.471:                              ;   in Loop: Header=BB4_361 Depth=2
	s_or_b32 exec_lo, exec_lo, s10
	v_lshrrev_b32_e32 v47, 21, v47
	v_min_i32_e32 v56, 31, v98
	v_cmp_gt_i32_e32 vcc_lo, 32, v98
	v_and_b32_sdwa v99, v99, v41 dst_sel:DWORD dst_unused:UNUSED_PAD src0_sel:BYTE_3 src1_sel:DWORD
	v_lshlrev_b32_e32 v56, 2, v56
	v_cndmask_b32_e32 v47, 3, v47, vcc_lo
	v_and_b32_e32 v56, 0xfc, v56
	v_and_b32_e32 v57, 3, v47
	v_or_b32_e32 v98, v98, v47
	v_or3_b32 v99, v99, v56, v57
	v_cmp_ne_u32_e32 vcc_lo, 0, v98
	v_lshlrev_b32_e32 v99, 8, v99
	v_cndmask_b32_e32 v98, 0, v99, vcc_lo
.LBB4_472:                              ;   in Loop: Header=BB4_361 Depth=2
	s_or_b32 exec_lo, exec_lo, s23
.LBB4_473:                              ;   in Loop: Header=BB4_361 Depth=2
	s_or_b32 exec_lo, exec_lo, s22
	v_and_b32_sdwa v47, v20, v44 dst_sel:DWORD dst_unused:UNUSED_PAD src0_sel:WORD_1 src1_sel:DWORD
	s_mov_b32 s10, 0
	s_mov_b32 s22, exec_lo
	v_cmpx_lt_i16_e32 0x7f, v47
	s_xor_b32 s22, exec_lo, s22
	s_cbranch_execnz .LBB4_571
; %bb.474:                              ;   in Loop: Header=BB4_361 Depth=2
	s_or_saveexec_b32 s22, s22
	v_mov_b32_e32 v99, 0x7f800001
	s_xor_b32 exec_lo, exec_lo, s22
	s_cbranch_execnz .LBB4_574
.LBB4_475:                              ;   in Loop: Header=BB4_361 Depth=2
	s_or_b32 exec_lo, exec_lo, s22
	s_and_saveexec_b32 s22, s10
	s_cbranch_execz .LBB4_477
.LBB4_476:                              ;   in Loop: Header=BB4_361 Depth=2
	v_bfe_u32 v99, v20, 16, 2
	v_bfe_u32 v57, v20, 18, 5
	v_lshlrev_b32_e32 v58, 8, v20
	v_ffbh_u32_e32 v47, v99
	v_cmp_eq_u32_e32 vcc_lo, 0, v57
	v_min_u32_e32 v47, 32, v47
	v_subrev_nc_u32_e32 v56, 29, v47
	v_sub_nc_u32_e32 v47, 30, v47
	v_lshlrev_b32_sdwa v56, v56, v20 dst_sel:DWORD dst_unused:UNUSED_PAD src0_sel:DWORD src1_sel:WORD_1
	v_cndmask_b32_e32 v47, v57, v47, vcc_lo
	v_and_b32_e32 v56, 3, v56
	v_lshl_add_u32 v47, v47, 23, 0x37800000
	v_cndmask_b32_e32 v99, v99, v56, vcc_lo
	v_and_b32_e32 v56, 0x80000000, v58
	v_lshlrev_b32_e32 v99, 21, v99
	v_or3_b32 v99, v56, v47, v99
.LBB4_477:                              ;   in Loop: Header=BB4_361 Depth=2
	s_or_b32 exec_lo, exec_lo, s22
	v_and_b32_sdwa v56, v83, v44 dst_sel:DWORD dst_unused:UNUSED_PAD src0_sel:WORD_1 src1_sel:DWORD
	s_mov_b32 s10, 0
	s_mov_b32 s22, exec_lo
	v_cmpx_lt_i16_e32 0x7f, v56
	s_xor_b32 s22, exec_lo, s22
	s_cbranch_execnz .LBB4_575
; %bb.478:                              ;   in Loop: Header=BB4_361 Depth=2
	s_or_saveexec_b32 s22, s22
	v_mov_b32_e32 v47, 0x7f800001
	s_xor_b32 exec_lo, exec_lo, s22
	s_cbranch_execnz .LBB4_578
.LBB4_479:                              ;   in Loop: Header=BB4_361 Depth=2
	s_or_b32 exec_lo, exec_lo, s22
	s_and_saveexec_b32 s22, s10
	s_cbranch_execz .LBB4_481
.LBB4_480:                              ;   in Loop: Header=BB4_361 Depth=2
	v_bfe_u32 v47, v83, 16, 2
	v_bfe_u32 v58, v83, 18, 5
	v_lshlrev_b32_e32 v59, 8, v83
	v_ffbh_u32_e32 v56, v47
	v_cmp_eq_u32_e32 vcc_lo, 0, v58
	v_min_u32_e32 v56, 32, v56
	v_subrev_nc_u32_e32 v57, 29, v56
	v_sub_nc_u32_e32 v56, 30, v56
	v_lshlrev_b32_sdwa v57, v57, v83 dst_sel:DWORD dst_unused:UNUSED_PAD src0_sel:DWORD src1_sel:WORD_1
	v_cndmask_b32_e32 v56, v58, v56, vcc_lo
	v_and_b32_e32 v57, 3, v57
	v_lshl_add_u32 v56, v56, 23, 0x37800000
	v_cndmask_b32_e32 v47, v47, v57, vcc_lo
	v_and_b32_e32 v57, 0x80000000, v59
	v_lshlrev_b32_e32 v47, 21, v47
	v_or3_b32 v47, v57, v56, v47
.LBB4_481:                              ;   in Loop: Header=BB4_361 Depth=2
	s_or_b32 exec_lo, exec_lo, s22
	v_mul_f32_e32 v47, v99, v47
	v_and_b32_e32 v99, 0x7f800000, v47
	v_cmp_ne_u32_e32 vcc_lo, 0x7f800000, v99
	v_mov_b32_e32 v99, 0x80
	s_and_saveexec_b32 s22, vcc_lo
	s_cbranch_execz .LBB4_489
; %bb.482:                              ;   in Loop: Header=BB4_361 Depth=2
	v_mov_b32_e32 v99, 0
	s_mov_b32 s23, exec_lo
	v_cmpx_ne_u32_e32 0, v47
	s_cbranch_execz .LBB4_488
; %bb.483:                              ;   in Loop: Header=BB4_361 Depth=2
	v_bfe_u32 v99, v47, 23, 8
	v_and_b32_e32 v56, 0x7fffff, v47
	v_sub_nc_u32_e32 v57, 0x70, v99
	v_cmp_gt_u32_e32 vcc_lo, 0x71, v99
	v_or_b32_e32 v58, 0x800000, v56
	v_cndmask_b32_e32 v57, 0, v57, vcc_lo
	v_cmp_eq_u32_e32 vcc_lo, 0, v99
	v_add_nc_u32_e32 v99, 0xffffff91, v99
	v_cndmask_b32_e64 v57, v57, 0x6f, vcc_lo
	v_cndmask_b32_e32 v56, v58, v56, vcc_lo
	v_cndmask_b32_e64 v99, v99, 0xffffff92, vcc_lo
	v_lshl_add_u32 v58, 0x200000, v57, -1
	v_lshrrev_b32_e32 v59, v57, v56
	v_lshlrev_b32_e64 v61, v57, 0x100000
	v_add_nc_u32_e32 v57, v57, v99
	v_and_b32_e32 v56, v58, v56
	v_bfe_u32 v60, v59, 21, 1
	v_cmp_eq_u32_e64 s10, v56, v61
	v_add_nc_u32_e32 v58, -1, v60
	v_cndmask_b32_e64 v56, 0, v58, s10
	v_lshrrev_b32_e32 v58, 23, v59
	s_mov_b32 s10, exec_lo
	v_add_nc_u32_e32 v56, v56, v59
	v_xor_b32_e32 v58, 1, v58
	v_and_b32_e32 v99, 0x1fffff, v56
	v_add_nc_u32_e32 v56, v99, v59
                                        ; implicit-def: $vgpr99
	v_cmpx_ne_u32_e64 v57, v58
	s_xor_b32 s10, exec_lo, s10
; %bb.484:                              ;   in Loop: Header=BB4_361 Depth=2
	v_cmp_lt_u32_e32 vcc_lo, 0xffffff, v56
	v_sub_nc_u32_e32 v99, v57, v58
	v_cndmask_b32_e64 v57, 0, 1, vcc_lo
	v_add_co_ci_u32_e64 v99, null, 0, v99, vcc_lo
	v_lshrrev_b32_e32 v56, v57, v56
; %bb.485:                              ;   in Loop: Header=BB4_361 Depth=2
	s_andn2_saveexec_b32 s10, s10
; %bb.486:                              ;   in Loop: Header=BB4_361 Depth=2
	v_bfe_u32 v99, v56, 23, 1
; %bb.487:                              ;   in Loop: Header=BB4_361 Depth=2
	s_or_b32 exec_lo, exec_lo, s10
	v_lshrrev_b32_e32 v56, 21, v56
	v_min_i32_e32 v57, 31, v99
	v_cmp_gt_i32_e32 vcc_lo, 32, v99
	v_and_b32_sdwa v47, v47, v41 dst_sel:DWORD dst_unused:UNUSED_PAD src0_sel:BYTE_3 src1_sel:DWORD
	v_lshlrev_b32_e32 v57, 2, v57
	v_cndmask_b32_e32 v56, 3, v56, vcc_lo
	v_and_b32_e32 v57, 0xfc, v57
	v_and_b32_e32 v58, 3, v56
	v_or_b32_e32 v99, v99, v56
	v_or3_b32 v47, v57, v47, v58
	v_cmp_ne_u32_e32 vcc_lo, 0, v99
	v_cndmask_b32_e32 v99, 0, v47, vcc_lo
.LBB4_488:                              ;   in Loop: Header=BB4_361 Depth=2
	s_or_b32 exec_lo, exec_lo, s23
.LBB4_489:                              ;   in Loop: Header=BB4_361 Depth=2
	s_or_b32 exec_lo, exec_lo, s22
	v_cmp_gt_i16_sdwa s22, v20, v40 src0_sel:BYTE_3 src1_sel:DWORD
	s_mov_b32 s10, 0
	s_and_saveexec_b32 s23, s22
	s_xor_b32 s22, exec_lo, s23
	s_cbranch_execnz .LBB4_579
; %bb.490:                              ;   in Loop: Header=BB4_361 Depth=2
	s_or_saveexec_b32 s22, s22
	v_mov_b32_e32 v47, 0x7f800001
	s_xor_b32 exec_lo, exec_lo, s22
	s_cbranch_execnz .LBB4_582
.LBB4_491:                              ;   in Loop: Header=BB4_361 Depth=2
	s_or_b32 exec_lo, exec_lo, s22
	s_and_saveexec_b32 s22, s10
	s_cbranch_execz .LBB4_493
.LBB4_492:                              ;   in Loop: Header=BB4_361 Depth=2
	v_bfe_u32 v47, v20, 24, 2
	v_bfe_u32 v58, v20, 26, 5
	v_ffbh_u32_e32 v56, v47
	v_cmp_eq_u32_e32 vcc_lo, 0, v58
	v_min_u32_e32 v56, 32, v56
	v_subrev_nc_u32_e32 v57, 29, v56
	v_sub_nc_u32_e32 v56, 30, v56
	v_lshlrev_b32_sdwa v57, v57, v20 dst_sel:DWORD dst_unused:UNUSED_PAD src0_sel:DWORD src1_sel:BYTE_3
	v_cndmask_b32_e32 v56, v58, v56, vcc_lo
	v_and_b32_e32 v20, 0x80000000, v20
	v_and_b32_e32 v57, 3, v57
	v_lshl_add_u32 v56, v56, 23, 0x37800000
	v_cndmask_b32_e32 v47, v47, v57, vcc_lo
	v_lshlrev_b32_e32 v47, 21, v47
	v_or3_b32 v47, v20, v56, v47
.LBB4_493:                              ;   in Loop: Header=BB4_361 Depth=2
	s_or_b32 exec_lo, exec_lo, s22
	v_cmp_gt_i16_sdwa s22, v83, v40 src0_sel:BYTE_3 src1_sel:DWORD
	s_mov_b32 s10, 0
	s_and_saveexec_b32 s23, s22
	s_xor_b32 s22, exec_lo, s23
	s_cbranch_execnz .LBB4_583
; %bb.494:                              ;   in Loop: Header=BB4_361 Depth=2
	s_or_saveexec_b32 s22, s22
	v_mov_b32_e32 v20, 0x7f800001
	s_xor_b32 exec_lo, exec_lo, s22
	s_cbranch_execnz .LBB4_586
.LBB4_495:                              ;   in Loop: Header=BB4_361 Depth=2
	s_or_b32 exec_lo, exec_lo, s22
	s_and_saveexec_b32 s22, s10
	s_cbranch_execz .LBB4_497
.LBB4_496:                              ;   in Loop: Header=BB4_361 Depth=2
	v_bfe_u32 v20, v83, 24, 2
	v_bfe_u32 v58, v83, 26, 5
	v_ffbh_u32_e32 v56, v20
	v_cmp_eq_u32_e32 vcc_lo, 0, v58
	v_min_u32_e32 v56, 32, v56
	v_subrev_nc_u32_e32 v57, 29, v56
	v_sub_nc_u32_e32 v56, 30, v56
	v_lshlrev_b32_sdwa v57, v57, v83 dst_sel:DWORD dst_unused:UNUSED_PAD src0_sel:DWORD src1_sel:BYTE_3
	v_cndmask_b32_e32 v56, v58, v56, vcc_lo
	v_and_b32_e32 v83, 0x80000000, v83
	v_and_b32_e32 v57, 3, v57
	v_lshl_add_u32 v56, v56, 23, 0x37800000
	v_cndmask_b32_e32 v20, v20, v57, vcc_lo
	v_lshlrev_b32_e32 v20, 21, v20
	v_or3_b32 v20, v83, v56, v20
.LBB4_497:                              ;   in Loop: Header=BB4_361 Depth=2
	s_or_b32 exec_lo, exec_lo, s22
	v_mul_f32_e32 v20, v47, v20
	v_and_b32_e32 v83, 0x7f800000, v20
	v_cmp_ne_u32_e32 vcc_lo, 0x7f800000, v83
	v_mov_b32_e32 v83, 0x8000
	s_and_saveexec_b32 s22, vcc_lo
	s_cbranch_execz .LBB4_505
; %bb.498:                              ;   in Loop: Header=BB4_361 Depth=2
	v_mov_b32_e32 v83, 0
	s_mov_b32 s23, exec_lo
	v_cmpx_ne_u32_e32 0, v20
	s_cbranch_execz .LBB4_504
; %bb.499:                              ;   in Loop: Header=BB4_361 Depth=2
	v_bfe_u32 v83, v20, 23, 8
	v_and_b32_e32 v47, 0x7fffff, v20
	v_sub_nc_u32_e32 v56, 0x70, v83
	v_cmp_gt_u32_e32 vcc_lo, 0x71, v83
	v_or_b32_e32 v57, 0x800000, v47
	v_cndmask_b32_e32 v56, 0, v56, vcc_lo
	v_cmp_eq_u32_e32 vcc_lo, 0, v83
	v_add_nc_u32_e32 v83, 0xffffff91, v83
	v_cndmask_b32_e64 v56, v56, 0x6f, vcc_lo
	v_cndmask_b32_e32 v47, v57, v47, vcc_lo
	v_cndmask_b32_e64 v83, v83, 0xffffff92, vcc_lo
	v_lshl_add_u32 v57, 0x200000, v56, -1
	v_lshrrev_b32_e32 v58, v56, v47
	v_lshlrev_b32_e64 v60, v56, 0x100000
	v_add_nc_u32_e32 v56, v56, v83
	v_and_b32_e32 v47, v57, v47
	v_bfe_u32 v59, v58, 21, 1
	v_cmp_eq_u32_e64 s10, v47, v60
	v_add_nc_u32_e32 v57, -1, v59
	v_cndmask_b32_e64 v47, 0, v57, s10
	v_lshrrev_b32_e32 v57, 23, v58
	s_mov_b32 s10, exec_lo
	v_add_nc_u32_e32 v47, v47, v58
	v_xor_b32_e32 v57, 1, v57
	v_and_b32_e32 v83, 0x1fffff, v47
	v_add_nc_u32_e32 v47, v83, v58
                                        ; implicit-def: $vgpr83
	v_cmpx_ne_u32_e64 v56, v57
	s_xor_b32 s10, exec_lo, s10
; %bb.500:                              ;   in Loop: Header=BB4_361 Depth=2
	v_cmp_lt_u32_e32 vcc_lo, 0xffffff, v47
	v_sub_nc_u32_e32 v83, v56, v57
	v_cndmask_b32_e64 v56, 0, 1, vcc_lo
	v_add_co_ci_u32_e64 v83, null, 0, v83, vcc_lo
	v_lshrrev_b32_e32 v47, v56, v47
; %bb.501:                              ;   in Loop: Header=BB4_361 Depth=2
	s_andn2_saveexec_b32 s10, s10
; %bb.502:                              ;   in Loop: Header=BB4_361 Depth=2
	v_bfe_u32 v83, v47, 23, 1
; %bb.503:                              ;   in Loop: Header=BB4_361 Depth=2
	s_or_b32 exec_lo, exec_lo, s10
	v_lshrrev_b32_e32 v47, 21, v47
	v_min_i32_e32 v56, 31, v83
	v_cmp_gt_i32_e32 vcc_lo, 32, v83
	v_and_b32_sdwa v20, v20, v41 dst_sel:DWORD dst_unused:UNUSED_PAD src0_sel:BYTE_3 src1_sel:DWORD
	v_lshlrev_b32_e32 v56, 2, v56
	v_cndmask_b32_e32 v47, 3, v47, vcc_lo
	v_and_b32_e32 v56, 0xfc, v56
	v_and_b32_e32 v57, 3, v47
	v_or_b32_e32 v83, v83, v47
	v_or3_b32 v20, v20, v56, v57
	v_cmp_ne_u32_e32 vcc_lo, 0, v83
	v_lshlrev_b32_e32 v20, 8, v20
	v_cndmask_b32_e32 v83, 0, v20, vcc_lo
.LBB4_504:                              ;   in Loop: Header=BB4_361 Depth=2
	s_or_b32 exec_lo, exec_lo, s23
.LBB4_505:                              ;   in Loop: Header=BB4_361 Depth=2
	s_or_b32 exec_lo, exec_lo, s22
	v_or_b32_e32 v21, v21, v19
	v_or_b32_e32 v18, v18, v54
	;; [unrolled: 1-line block ×4, first 2 shown]
	v_cmp_lt_u32_e32 vcc_lo, 7, v46
	s_mov_b32 s10, -1
	v_lshl_or_b32 v18, v18, 16, v21
	v_lshl_or_b32 v19, v19, 16, v20
	s_cmp_lg_u32 vcc_lo, exec_lo
	s_cbranch_scc0 .LBB4_521
; %bb.506:                              ;   in Loop: Header=BB4_361 Depth=2
	s_mov_b32 s22, exec_lo
	flat_store_byte v[80:81], v21
	v_cmpx_ne_u32_e32 1, v46
	s_cbranch_execz .LBB4_508
; %bb.507:                              ;   in Loop: Header=BB4_361 Depth=2
	v_lshrrev_b32_e32 v21, 8, v21
	flat_store_byte v[80:81], v21 offset:1
.LBB4_508:                              ;   in Loop: Header=BB4_361 Depth=2
	s_or_b32 exec_lo, exec_lo, s22
	s_mov_b32 s22, exec_lo
	v_cmpx_lt_u32_e32 2, v46
	s_cbranch_execz .LBB4_510
; %bb.509:                              ;   in Loop: Header=BB4_361 Depth=2
	flat_store_byte_d16_hi v[80:81], v18 offset:2
.LBB4_510:                              ;   in Loop: Header=BB4_361 Depth=2
	s_or_b32 exec_lo, exec_lo, s22
	s_mov_b32 s22, exec_lo
	v_cmpx_lt_u32_e32 3, v46
	s_cbranch_execz .LBB4_512
; %bb.511:                              ;   in Loop: Header=BB4_361 Depth=2
	v_lshrrev_b32_e32 v21, 24, v18
	flat_store_byte v[80:81], v21 offset:3
.LBB4_512:                              ;   in Loop: Header=BB4_361 Depth=2
	s_or_b32 exec_lo, exec_lo, s22
	s_mov_b32 s22, exec_lo
	v_cmpx_lt_u32_e32 4, v46
	s_cbranch_execz .LBB4_514
; %bb.513:                              ;   in Loop: Header=BB4_361 Depth=2
	flat_store_byte v[80:81], v20 offset:4
.LBB4_514:                              ;   in Loop: Header=BB4_361 Depth=2
	s_or_b32 exec_lo, exec_lo, s22
	s_mov_b32 s22, exec_lo
	v_cmpx_lt_u32_e32 5, v46
	s_cbranch_execz .LBB4_516
; %bb.515:                              ;   in Loop: Header=BB4_361 Depth=2
	v_lshrrev_b32_e32 v20, 8, v20
	flat_store_byte v[80:81], v20 offset:5
.LBB4_516:                              ;   in Loop: Header=BB4_361 Depth=2
	s_or_b32 exec_lo, exec_lo, s22
	s_mov_b32 s22, exec_lo
	v_cmpx_lt_u32_e32 6, v46
	s_cbranch_execz .LBB4_518
; %bb.517:                              ;   in Loop: Header=BB4_361 Depth=2
	flat_store_byte_d16_hi v[80:81], v19 offset:6
.LBB4_518:                              ;   in Loop: Header=BB4_361 Depth=2
	s_or_b32 exec_lo, exec_lo, s22
	s_and_saveexec_b32 s10, vcc_lo
	s_cbranch_execz .LBB4_520
; %bb.519:                              ;   in Loop: Header=BB4_361 Depth=2
	v_lshrrev_b32_e32 v20, 24, v19
	flat_store_byte v[80:81], v20 offset:7
.LBB4_520:                              ;   in Loop: Header=BB4_361 Depth=2
	s_or_b32 exec_lo, exec_lo, s10
	s_mov_b32 s10, 0
.LBB4_521:                              ;   in Loop: Header=BB4_361 Depth=2
	s_and_b32 vcc_lo, exec_lo, s10
	s_cbranch_vccz .LBB4_360
; %bb.522:                              ;   in Loop: Header=BB4_361 Depth=2
	global_store_dwordx2 v[80:81], v[18:19], off
	s_branch .LBB4_360
.LBB4_523:                              ;   in Loop: Header=BB4_361 Depth=2
	v_cmp_eq_u16_sdwa s24, v18, v41 src0_sel:BYTE_0 src1_sel:DWORD
	s_mov_b32 s10, -1
	s_and_saveexec_b32 s23, s24
; %bb.524:                              ;   in Loop: Header=BB4_361 Depth=2
	s_xor_b32 s10, exec_lo, -1
; %bb.525:                              ;   in Loop: Header=BB4_361 Depth=2
	s_or_b32 exec_lo, exec_lo, s23
	s_and_b32 s10, s10, exec_lo
	s_or_saveexec_b32 s22, s22
	v_mov_b32_e32 v19, 0x7f800001
	s_xor_b32 exec_lo, exec_lo, s22
	s_cbranch_execz .LBB4_379
.LBB4_526:                              ;   in Loop: Header=BB4_361 Depth=2
	v_cmp_ne_u16_sdwa s23, v18, v55 src0_sel:BYTE_0 src1_sel:DWORD
	v_mov_b32_e32 v19, 0
	s_andn2_b32 s10, s10, exec_lo
	s_and_b32 s23, s23, exec_lo
	s_or_b32 s10, s10, s23
	s_or_b32 exec_lo, exec_lo, s22
	s_and_saveexec_b32 s22, s10
	s_cbranch_execnz .LBB4_380
	s_branch .LBB4_381
.LBB4_527:                              ;   in Loop: Header=BB4_361 Depth=2
	v_cmp_eq_u16_sdwa s24, v84, v41 src0_sel:BYTE_0 src1_sel:DWORD
	s_mov_b32 s10, -1
	s_and_saveexec_b32 s23, s24
; %bb.528:                              ;   in Loop: Header=BB4_361 Depth=2
	s_xor_b32 s10, exec_lo, -1
; %bb.529:                              ;   in Loop: Header=BB4_361 Depth=2
	s_or_b32 exec_lo, exec_lo, s23
	s_and_b32 s10, s10, exec_lo
	s_or_saveexec_b32 s22, s22
	v_mov_b32_e32 v21, 0x7f800001
	s_xor_b32 exec_lo, exec_lo, s22
	s_cbranch_execz .LBB4_383
.LBB4_530:                              ;   in Loop: Header=BB4_361 Depth=2
	v_cmp_ne_u16_sdwa s23, v84, v55 src0_sel:BYTE_0 src1_sel:DWORD
	v_mov_b32_e32 v21, 0
	s_andn2_b32 s10, s10, exec_lo
	s_and_b32 s23, s23, exec_lo
	s_or_b32 s10, s10, s23
	s_or_b32 exec_lo, exec_lo, s22
	s_and_saveexec_b32 s22, s10
	s_cbranch_execnz .LBB4_384
	s_branch .LBB4_385
.LBB4_531:                              ;   in Loop: Header=BB4_361 Depth=2
	v_cmp_eq_u16_sdwa s24, v18, v41 src0_sel:BYTE_1 src1_sel:DWORD
	s_mov_b32 s10, -1
	s_and_saveexec_b32 s23, s24
; %bb.532:                              ;   in Loop: Header=BB4_361 Depth=2
	s_xor_b32 s10, exec_lo, -1
; %bb.533:                              ;   in Loop: Header=BB4_361 Depth=2
	s_or_b32 exec_lo, exec_lo, s23
	s_and_b32 s10, s10, exec_lo
	s_or_saveexec_b32 s22, s22
	v_mov_b32_e32 v21, 0x7f800001
	s_xor_b32 exec_lo, exec_lo, s22
	s_cbranch_execz .LBB4_395
.LBB4_534:                              ;   in Loop: Header=BB4_361 Depth=2
	v_cmp_ne_u16_sdwa s23, v18, v55 src0_sel:BYTE_1 src1_sel:DWORD
	v_mov_b32_e32 v21, 0
	s_andn2_b32 s10, s10, exec_lo
	s_and_b32 s23, s23, exec_lo
	s_or_b32 s10, s10, s23
	s_or_b32 exec_lo, exec_lo, s22
	s_and_saveexec_b32 s22, s10
	s_cbranch_execnz .LBB4_396
	s_branch .LBB4_397
.LBB4_535:                              ;   in Loop: Header=BB4_361 Depth=2
	v_cmp_eq_u16_sdwa s24, v84, v41 src0_sel:BYTE_1 src1_sel:DWORD
	s_mov_b32 s10, -1
	s_and_saveexec_b32 s23, s24
; %bb.536:                              ;   in Loop: Header=BB4_361 Depth=2
	s_xor_b32 s10, exec_lo, -1
; %bb.537:                              ;   in Loop: Header=BB4_361 Depth=2
	s_or_b32 exec_lo, exec_lo, s23
	s_and_b32 s10, s10, exec_lo
	s_or_saveexec_b32 s22, s22
	v_mov_b32_e32 v54, 0x7f800001
	s_xor_b32 exec_lo, exec_lo, s22
	s_cbranch_execz .LBB4_399
.LBB4_538:                              ;   in Loop: Header=BB4_361 Depth=2
	v_cmp_ne_u16_sdwa s23, v84, v55 src0_sel:BYTE_1 src1_sel:DWORD
	v_mov_b32_e32 v54, 0
	s_andn2_b32 s10, s10, exec_lo
	s_and_b32 s23, s23, exec_lo
	s_or_b32 s10, s10, s23
	s_or_b32 exec_lo, exec_lo, s22
	s_and_saveexec_b32 s22, s10
	s_cbranch_execnz .LBB4_400
	s_branch .LBB4_401
.LBB4_539:                              ;   in Loop: Header=BB4_361 Depth=2
	s_mov_b32 s10, -1
	s_mov_b32 s23, exec_lo
	v_cmpx_eq_u16_e32 0x80, v47
; %bb.540:                              ;   in Loop: Header=BB4_361 Depth=2
	s_xor_b32 s10, exec_lo, -1
; %bb.541:                              ;   in Loop: Header=BB4_361 Depth=2
	s_or_b32 exec_lo, exec_lo, s23
	s_and_b32 s10, s10, exec_lo
                                        ; implicit-def: $vgpr47
	s_or_saveexec_b32 s22, s22
	v_mov_b32_e32 v54, 0x7f800001
	s_xor_b32 exec_lo, exec_lo, s22
	s_cbranch_execz .LBB4_411
.LBB4_542:                              ;   in Loop: Header=BB4_361 Depth=2
	v_cmp_ne_u16_e32 vcc_lo, 0, v47
	v_mov_b32_e32 v54, 0
	s_andn2_b32 s10, s10, exec_lo
	s_and_b32 s23, vcc_lo, exec_lo
	s_or_b32 s10, s10, s23
	s_or_b32 exec_lo, exec_lo, s22
	s_and_saveexec_b32 s22, s10
	s_cbranch_execnz .LBB4_412
	s_branch .LBB4_413
.LBB4_543:                              ;   in Loop: Header=BB4_361 Depth=2
	s_mov_b32 s10, -1
	s_mov_b32 s23, exec_lo
	v_cmpx_eq_u16_e32 0x80, v56
; %bb.544:                              ;   in Loop: Header=BB4_361 Depth=2
	s_xor_b32 s10, exec_lo, -1
; %bb.545:                              ;   in Loop: Header=BB4_361 Depth=2
	s_or_b32 exec_lo, exec_lo, s23
	s_and_b32 s10, s10, exec_lo
                                        ; implicit-def: $vgpr56
	s_or_saveexec_b32 s22, s22
	v_mov_b32_e32 v47, 0x7f800001
	s_xor_b32 exec_lo, exec_lo, s22
	s_cbranch_execz .LBB4_415
.LBB4_546:                              ;   in Loop: Header=BB4_361 Depth=2
	v_cmp_ne_u16_e32 vcc_lo, 0, v56
	v_mov_b32_e32 v47, 0
	s_andn2_b32 s10, s10, exec_lo
	s_and_b32 s23, vcc_lo, exec_lo
	s_or_b32 s10, s10, s23
	s_or_b32 exec_lo, exec_lo, s22
	s_and_saveexec_b32 s22, s10
	s_cbranch_execnz .LBB4_416
	s_branch .LBB4_417
.LBB4_547:                              ;   in Loop: Header=BB4_361 Depth=2
	v_cmp_eq_u16_sdwa s24, v18, v41 src0_sel:BYTE_3 src1_sel:DWORD
	s_mov_b32 s10, -1
	s_and_saveexec_b32 s23, s24
; %bb.548:                              ;   in Loop: Header=BB4_361 Depth=2
	s_xor_b32 s10, exec_lo, -1
; %bb.549:                              ;   in Loop: Header=BB4_361 Depth=2
	s_or_b32 exec_lo, exec_lo, s23
	s_and_b32 s10, s10, exec_lo
	s_or_saveexec_b32 s22, s22
	v_mov_b32_e32 v47, 0x7f800001
	s_xor_b32 exec_lo, exec_lo, s22
	s_cbranch_execz .LBB4_427
.LBB4_550:                              ;   in Loop: Header=BB4_361 Depth=2
	v_cmp_ne_u16_sdwa s23, v18, v55 src0_sel:BYTE_3 src1_sel:DWORD
	v_mov_b32_e32 v47, 0
	s_andn2_b32 s10, s10, exec_lo
	s_and_b32 s23, s23, exec_lo
	s_or_b32 s10, s10, s23
	s_or_b32 exec_lo, exec_lo, s22
	s_and_saveexec_b32 s22, s10
	s_cbranch_execnz .LBB4_428
	s_branch .LBB4_429
.LBB4_551:                              ;   in Loop: Header=BB4_361 Depth=2
	v_cmp_eq_u16_sdwa s24, v84, v41 src0_sel:BYTE_3 src1_sel:DWORD
	s_mov_b32 s10, -1
	s_and_saveexec_b32 s23, s24
; %bb.552:                              ;   in Loop: Header=BB4_361 Depth=2
	s_xor_b32 s10, exec_lo, -1
; %bb.553:                              ;   in Loop: Header=BB4_361 Depth=2
	s_or_b32 exec_lo, exec_lo, s23
	s_and_b32 s10, s10, exec_lo
	s_or_saveexec_b32 s22, s22
	v_mov_b32_e32 v18, 0x7f800001
	s_xor_b32 exec_lo, exec_lo, s22
	s_cbranch_execz .LBB4_431
.LBB4_554:                              ;   in Loop: Header=BB4_361 Depth=2
	v_cmp_ne_u16_sdwa s23, v84, v55 src0_sel:BYTE_3 src1_sel:DWORD
	v_mov_b32_e32 v18, 0
	s_andn2_b32 s10, s10, exec_lo
	s_and_b32 s23, s23, exec_lo
	s_or_b32 s10, s10, s23
	s_or_b32 exec_lo, exec_lo, s22
	s_and_saveexec_b32 s22, s10
	s_cbranch_execnz .LBB4_432
	s_branch .LBB4_433
.LBB4_555:                              ;   in Loop: Header=BB4_361 Depth=2
	v_cmp_eq_u16_sdwa s24, v20, v41 src0_sel:BYTE_0 src1_sel:DWORD
	s_mov_b32 s10, -1
	s_and_saveexec_b32 s23, s24
; %bb.556:                              ;   in Loop: Header=BB4_361 Depth=2
	s_xor_b32 s10, exec_lo, -1
; %bb.557:                              ;   in Loop: Header=BB4_361 Depth=2
	s_or_b32 exec_lo, exec_lo, s23
	s_and_b32 s10, s10, exec_lo
	s_or_saveexec_b32 s22, s22
	v_mov_b32_e32 v84, 0x7f800001
	s_xor_b32 exec_lo, exec_lo, s22
	s_cbranch_execz .LBB4_443
.LBB4_558:                              ;   in Loop: Header=BB4_361 Depth=2
	v_cmp_ne_u16_sdwa s23, v20, v55 src0_sel:BYTE_0 src1_sel:DWORD
	v_mov_b32_e32 v84, 0
	s_andn2_b32 s10, s10, exec_lo
	s_and_b32 s23, s23, exec_lo
	s_or_b32 s10, s10, s23
	s_or_b32 exec_lo, exec_lo, s22
	s_and_saveexec_b32 s22, s10
	s_cbranch_execnz .LBB4_444
	s_branch .LBB4_445
.LBB4_559:                              ;   in Loop: Header=BB4_361 Depth=2
	v_cmp_eq_u16_sdwa s24, v83, v41 src0_sel:BYTE_0 src1_sel:DWORD
	s_mov_b32 s10, -1
	s_and_saveexec_b32 s23, s24
; %bb.560:                              ;   in Loop: Header=BB4_361 Depth=2
	s_xor_b32 s10, exec_lo, -1
; %bb.561:                              ;   in Loop: Header=BB4_361 Depth=2
	s_or_b32 exec_lo, exec_lo, s23
	s_and_b32 s10, s10, exec_lo
	s_or_saveexec_b32 s22, s22
	v_mov_b32_e32 v98, 0x7f800001
	s_xor_b32 exec_lo, exec_lo, s22
	s_cbranch_execz .LBB4_447
.LBB4_562:                              ;   in Loop: Header=BB4_361 Depth=2
	v_cmp_ne_u16_sdwa s23, v83, v55 src0_sel:BYTE_0 src1_sel:DWORD
	v_mov_b32_e32 v98, 0
	s_andn2_b32 s10, s10, exec_lo
	s_and_b32 s23, s23, exec_lo
	s_or_b32 s10, s10, s23
	s_or_b32 exec_lo, exec_lo, s22
	s_and_saveexec_b32 s22, s10
	s_cbranch_execnz .LBB4_448
	s_branch .LBB4_449
.LBB4_563:                              ;   in Loop: Header=BB4_361 Depth=2
	v_cmp_eq_u16_sdwa s24, v20, v41 src0_sel:BYTE_1 src1_sel:DWORD
	s_mov_b32 s10, -1
	s_and_saveexec_b32 s23, s24
; %bb.564:                              ;   in Loop: Header=BB4_361 Depth=2
	s_xor_b32 s10, exec_lo, -1
; %bb.565:                              ;   in Loop: Header=BB4_361 Depth=2
	s_or_b32 exec_lo, exec_lo, s23
	s_and_b32 s10, s10, exec_lo
	s_or_saveexec_b32 s22, s22
	v_mov_b32_e32 v98, 0x7f800001
	s_xor_b32 exec_lo, exec_lo, s22
	s_cbranch_execz .LBB4_459
.LBB4_566:                              ;   in Loop: Header=BB4_361 Depth=2
	v_cmp_ne_u16_sdwa s23, v20, v55 src0_sel:BYTE_1 src1_sel:DWORD
	v_mov_b32_e32 v98, 0
	s_andn2_b32 s10, s10, exec_lo
	s_and_b32 s23, s23, exec_lo
	s_or_b32 s10, s10, s23
	s_or_b32 exec_lo, exec_lo, s22
	s_and_saveexec_b32 s22, s10
	s_cbranch_execnz .LBB4_460
	s_branch .LBB4_461
.LBB4_567:                              ;   in Loop: Header=BB4_361 Depth=2
	v_cmp_eq_u16_sdwa s24, v83, v41 src0_sel:BYTE_1 src1_sel:DWORD
	s_mov_b32 s10, -1
	s_and_saveexec_b32 s23, s24
; %bb.568:                              ;   in Loop: Header=BB4_361 Depth=2
	s_xor_b32 s10, exec_lo, -1
; %bb.569:                              ;   in Loop: Header=BB4_361 Depth=2
	s_or_b32 exec_lo, exec_lo, s23
	s_and_b32 s10, s10, exec_lo
	s_or_saveexec_b32 s22, s22
	v_mov_b32_e32 v99, 0x7f800001
	s_xor_b32 exec_lo, exec_lo, s22
	s_cbranch_execz .LBB4_463
.LBB4_570:                              ;   in Loop: Header=BB4_361 Depth=2
	v_cmp_ne_u16_sdwa s23, v83, v55 src0_sel:BYTE_1 src1_sel:DWORD
	v_mov_b32_e32 v99, 0
	s_andn2_b32 s10, s10, exec_lo
	s_and_b32 s23, s23, exec_lo
	s_or_b32 s10, s10, s23
	s_or_b32 exec_lo, exec_lo, s22
	s_and_saveexec_b32 s22, s10
	s_cbranch_execnz .LBB4_464
	s_branch .LBB4_465
.LBB4_571:                              ;   in Loop: Header=BB4_361 Depth=2
	s_mov_b32 s10, -1
	s_mov_b32 s23, exec_lo
	v_cmpx_eq_u16_e32 0x80, v47
; %bb.572:                              ;   in Loop: Header=BB4_361 Depth=2
	s_xor_b32 s10, exec_lo, -1
; %bb.573:                              ;   in Loop: Header=BB4_361 Depth=2
	s_or_b32 exec_lo, exec_lo, s23
	s_and_b32 s10, s10, exec_lo
                                        ; implicit-def: $vgpr47
	s_or_saveexec_b32 s22, s22
	v_mov_b32_e32 v99, 0x7f800001
	s_xor_b32 exec_lo, exec_lo, s22
	s_cbranch_execz .LBB4_475
.LBB4_574:                              ;   in Loop: Header=BB4_361 Depth=2
	v_cmp_ne_u16_e32 vcc_lo, 0, v47
	v_mov_b32_e32 v99, 0
	s_andn2_b32 s10, s10, exec_lo
	s_and_b32 s23, vcc_lo, exec_lo
	s_or_b32 s10, s10, s23
	s_or_b32 exec_lo, exec_lo, s22
	s_and_saveexec_b32 s22, s10
	s_cbranch_execnz .LBB4_476
	s_branch .LBB4_477
.LBB4_575:                              ;   in Loop: Header=BB4_361 Depth=2
	s_mov_b32 s10, -1
	s_mov_b32 s23, exec_lo
	v_cmpx_eq_u16_e32 0x80, v56
; %bb.576:                              ;   in Loop: Header=BB4_361 Depth=2
	s_xor_b32 s10, exec_lo, -1
; %bb.577:                              ;   in Loop: Header=BB4_361 Depth=2
	s_or_b32 exec_lo, exec_lo, s23
	s_and_b32 s10, s10, exec_lo
                                        ; implicit-def: $vgpr56
	s_or_saveexec_b32 s22, s22
	v_mov_b32_e32 v47, 0x7f800001
	s_xor_b32 exec_lo, exec_lo, s22
	s_cbranch_execz .LBB4_479
.LBB4_578:                              ;   in Loop: Header=BB4_361 Depth=2
	v_cmp_ne_u16_e32 vcc_lo, 0, v56
	v_mov_b32_e32 v47, 0
	s_andn2_b32 s10, s10, exec_lo
	s_and_b32 s23, vcc_lo, exec_lo
	s_or_b32 s10, s10, s23
	s_or_b32 exec_lo, exec_lo, s22
	s_and_saveexec_b32 s22, s10
	s_cbranch_execnz .LBB4_480
	s_branch .LBB4_481
.LBB4_579:                              ;   in Loop: Header=BB4_361 Depth=2
	v_cmp_eq_u16_sdwa s24, v20, v41 src0_sel:BYTE_3 src1_sel:DWORD
	s_mov_b32 s10, -1
	s_and_saveexec_b32 s23, s24
; %bb.580:                              ;   in Loop: Header=BB4_361 Depth=2
	s_xor_b32 s10, exec_lo, -1
; %bb.581:                              ;   in Loop: Header=BB4_361 Depth=2
	s_or_b32 exec_lo, exec_lo, s23
	s_and_b32 s10, s10, exec_lo
	s_or_saveexec_b32 s22, s22
	v_mov_b32_e32 v47, 0x7f800001
	s_xor_b32 exec_lo, exec_lo, s22
	s_cbranch_execz .LBB4_491
.LBB4_582:                              ;   in Loop: Header=BB4_361 Depth=2
	v_cmp_ne_u16_sdwa s23, v20, v55 src0_sel:BYTE_3 src1_sel:DWORD
	v_mov_b32_e32 v47, 0
	s_andn2_b32 s10, s10, exec_lo
	s_and_b32 s23, s23, exec_lo
	s_or_b32 s10, s10, s23
	s_or_b32 exec_lo, exec_lo, s22
	s_and_saveexec_b32 s22, s10
	s_cbranch_execnz .LBB4_492
	s_branch .LBB4_493
.LBB4_583:                              ;   in Loop: Header=BB4_361 Depth=2
	v_cmp_eq_u16_sdwa s24, v83, v41 src0_sel:BYTE_3 src1_sel:DWORD
	s_mov_b32 s10, -1
	s_and_saveexec_b32 s23, s24
; %bb.584:                              ;   in Loop: Header=BB4_361 Depth=2
	s_xor_b32 s10, exec_lo, -1
; %bb.585:                              ;   in Loop: Header=BB4_361 Depth=2
	s_or_b32 exec_lo, exec_lo, s23
	s_and_b32 s10, s10, exec_lo
	s_or_saveexec_b32 s22, s22
	v_mov_b32_e32 v20, 0x7f800001
	s_xor_b32 exec_lo, exec_lo, s22
	s_cbranch_execz .LBB4_495
.LBB4_586:                              ;   in Loop: Header=BB4_361 Depth=2
	v_cmp_ne_u16_sdwa s23, v83, v55 src0_sel:BYTE_3 src1_sel:DWORD
	v_mov_b32_e32 v20, 0
	s_andn2_b32 s10, s10, exec_lo
	s_and_b32 s23, s23, exec_lo
	s_or_b32 s10, s10, s23
	s_or_b32 exec_lo, exec_lo, s22
	s_and_saveexec_b32 s22, s10
	s_cbranch_execnz .LBB4_496
	s_branch .LBB4_497
.LBB4_587:                              ;   in Loop: Header=BB4_36 Depth=1
	s_or_b32 exec_lo, exec_lo, s12
	s_or_b32 exec_lo, exec_lo, s11
	s_and_saveexec_b32 s10, s7
	s_cbranch_execz .LBB4_358
.LBB4_588:                              ;   in Loop: Header=BB4_36 Depth=1
	s_and_saveexec_b32 s11, s19
	s_xor_b32 s11, exec_lo, s11
	s_cbranch_execz .LBB4_603
; %bb.589:                              ;   in Loop: Header=BB4_36 Depth=1
	s_and_saveexec_b32 s12, s8
	s_cbranch_execz .LBB4_602
; %bb.590:                              ;   in Loop: Header=BB4_36 Depth=1
	s_mov_b32 s23, exec_lo
	s_mov_b32 s22, exec_lo
	v_mbcnt_lo_u32_b32 v18, s23, 0
	s_waitcnt vmcnt(0) lgkmcnt(0)
	s_waitcnt_vscnt null, 0x0
	buffer_gl1_inv
	buffer_gl0_inv
	v_cmpx_eq_u32_e32 0, v18
	s_cbranch_execz .LBB4_592
; %bb.591:                              ;   in Loop: Header=BB4_36 Depth=1
	s_bcnt1_i32_b32 s23, s23
	v_mov_b32_e32 v54, s23
	ds_add_u64 v0, v[54:55]
	s_trap 2
.LBB4_592:                              ;   in Loop: Header=BB4_36 Depth=1
	s_or_b32 exec_lo, exec_lo, s22
	s_trap 2
	ds_read_b64 v[18:19], v0
	s_waitcnt lgkmcnt(0)
	buffer_gl0_inv
	v_add_co_u32 v2, vcc_lo, v2, v102
	v_add_co_ci_u32_e64 v3, null, 0, v3, vcc_lo
	s_mov_b32 s22, exec_lo
	v_cmpx_lt_u64_e64 v[18:19], v[2:3]
	s_cbranch_execz .LBB4_601
; %bb.593:                              ;   in Loop: Header=BB4_36 Depth=1
	s_mov_b32 s23, 0
	s_mov_b32 s26, 0
                                        ; implicit-def: $sgpr24
                                        ; implicit-def: $sgpr25
	s_inst_prefetch 0x1
	s_branch .LBB4_595
	.p2align	6
.LBB4_594:                              ;   in Loop: Header=BB4_595 Depth=2
	s_or_b32 exec_lo, exec_lo, s28
	s_and_b32 s27, exec_lo, s29
	s_or_b32 s23, s27, s23
	s_andn2_b32 s24, s24, exec_lo
	s_and_b32 s27, s25, exec_lo
	s_or_b32 s24, s24, s27
	s_andn2_b32 exec_lo, exec_lo, s23
	s_cbranch_execz .LBB4_599
.LBB4_595:                              ;   Parent Loop BB4_36 Depth=1
                                        ; =>  This Inner Loop Header: Depth=2
	s_add_i32 s26, s26, 1
	s_cmpk_lg_i32 s26, 0x2710
	s_cselect_b32 s27, -1, 0
	s_and_b32 vcc_lo, exec_lo, s27
	s_cbranch_vccz .LBB4_597
; %bb.596:                              ;   in Loop: Header=BB4_595 Depth=2
	s_mov_b32 s29, -1
	s_or_b32 s25, s25, exec_lo
	s_and_saveexec_b32 s28, s27
	s_cbranch_execz .LBB4_594
	s_branch .LBB4_598
	.p2align	6
.LBB4_597:                              ;   in Loop: Header=BB4_595 Depth=2
	s_trap 2
	ds_read_b64 v[18:19], v0
	s_andn2_b32 s27, s27, exec_lo
	s_mov_b32 s26, 0
	s_waitcnt lgkmcnt(0)
	flat_load_dword v18, v[18:19] glc dlc
	s_waitcnt vmcnt(0) lgkmcnt(0)
	buffer_gl1_inv
	buffer_gl0_inv
	v_cmp_eq_u32_e32 vcc_lo, 0, v18
	s_and_b32 s28, vcc_lo, exec_lo
	s_or_b32 s27, s27, s28
	s_mov_b32 s29, -1
	s_or_b32 s25, s25, exec_lo
	s_and_saveexec_b32 s28, s27
	s_cbranch_execz .LBB4_594
.LBB4_598:                              ;   in Loop: Header=BB4_595 Depth=2
	s_sleep 1
	s_trap 2
	ds_read_b64 v[18:19], v0
	s_waitcnt lgkmcnt(0)
	buffer_gl0_inv
	s_andn2_b32 s25, s25, exec_lo
	v_cmp_ge_u64_e32 vcc_lo, v[18:19], v[2:3]
	s_orn2_b32 s29, vcc_lo, exec_lo
	s_branch .LBB4_594
.LBB4_599:                              ;   in Loop: Header=BB4_36 Depth=1
	s_inst_prefetch 0x2
	s_or_b32 exec_lo, exec_lo, s23
	s_and_saveexec_b32 s23, s24
	s_xor_b32 s23, exec_lo, s23
	s_cbranch_execz .LBB4_601
; %bb.600:                              ;   in Loop: Header=BB4_36 Depth=1
	ds_write_b32 v0, v119
	s_trap 2
.LBB4_601:                              ;   in Loop: Header=BB4_36 Depth=1
	s_or_b32 exec_lo, exec_lo, s22
	;;#ASMSTART
	s_wakeup
	;;#ASMEND
.LBB4_602:                              ;   in Loop: Header=BB4_36 Depth=1
	s_or_b32 exec_lo, exec_lo, s12
.LBB4_603:                              ;   in Loop: Header=BB4_36 Depth=1
	s_andn2_saveexec_b32 s11, s11
	s_cbranch_execz .LBB4_605
; %bb.604:                              ;   in Loop: Header=BB4_36 Depth=1
	s_waitcnt vmcnt(0) lgkmcnt(0)
	s_waitcnt_vscnt null, 0x0
	buffer_gl1_inv
	buffer_gl0_inv
	s_barrier
.LBB4_605:                              ;   in Loop: Header=BB4_36 Depth=1
	s_or_b32 exec_lo, exec_lo, s11
	s_or_b32 exec_lo, exec_lo, s10
	s_and_saveexec_b32 s10, s9
	s_cbranch_execz .LBB4_35
.LBB4_606:                              ;   in Loop: Header=BB4_36 Depth=1
	v_add_co_u32 v48, vcc_lo, v48, 1
	v_add_co_ci_u32_e64 v49, null, 0, v49, vcc_lo
	s_waitcnt vmcnt(0) lgkmcnt(0)
	s_waitcnt_vscnt null, 0x0
	flat_store_dwordx2 v[50:51], v[48:49]
	s_branch .LBB4_35
.LBB4_607:
	s_or_b32 exec_lo, exec_lo, s20
	s_or_b32 exec_lo, exec_lo, s17
	s_and_saveexec_b32 s5, s16
	s_cbranch_execz .LBB4_20
.LBB4_608:
	s_waitcnt vmcnt(0) lgkmcnt(0)
	flat_store_dwordx2 v[32:33], v[48:49] offset:104
	s_or_b32 exec_lo, exec_lo, s5
	s_and_saveexec_b32 s5, s4
	s_cbranch_execnz .LBB4_21
	s_branch .LBB4_22
.LBB4_609:
	s_inst_prefetch 0x2
	s_or_b32 exec_lo, exec_lo, s8
	s_and_saveexec_b32 s8, s9
	s_xor_b32 s8, exec_lo, s8
	s_cbranch_execz .LBB4_611
; %bb.610:
	v_mov_b32_e32 v0, 1
	ds_write_b32 v0, v0
	s_trap 2
.LBB4_611:
	s_or_b32 exec_lo, exec_lo, s7
	;;#ASMSTART
	s_wakeup
	;;#ASMEND
.LBB4_612:
	s_or_b32 exec_lo, exec_lo, s6
.LBB4_613:
	s_andn2_saveexec_b32 s5, s5
	s_cbranch_execz .LBB4_615
; %bb.614:
	s_waitcnt vmcnt(0) lgkmcnt(0)
	s_waitcnt_vscnt null, 0x0
	buffer_gl1_inv
	buffer_gl0_inv
	s_barrier
.LBB4_615:
	s_or_b32 exec_lo, exec_lo, s4
	s_clause 0x17
	buffer_load_dword v79, off, s[0:3], s32
	buffer_load_dword v78, off, s[0:3], s32 offset:4
	buffer_load_dword v77, off, s[0:3], s32 offset:8
	;; [unrolled: 1-line block ×23, first 2 shown]
	s_waitcnt vmcnt(0) lgkmcnt(0)
	s_setpc_b64 s[30:31]
.Lfunc_end4:
	.size	_ZN12_GLOBAL__N_17runRingI12rccl_bfloat88FuncProdIS1_E7ProtoLLLi0ELi4ELi0EEEviiP15ncclDevWorkColl, .Lfunc_end4-_ZN12_GLOBAL__N_17runRingI12rccl_bfloat88FuncProdIS1_E7ProtoLLLi0ELi4ELi0EEEviiP15ncclDevWorkColl
                                        ; -- End function
	.set .L_ZN12_GLOBAL__N_17runRingI12rccl_bfloat88FuncProdIS1_E7ProtoLLLi0ELi4ELi0EEEviiP15ncclDevWorkColl.num_vgpr, 120
	.set .L_ZN12_GLOBAL__N_17runRingI12rccl_bfloat88FuncProdIS1_E7ProtoLLLi0ELi4ELi0EEEviiP15ncclDevWorkColl.num_agpr, 0
	.set .L_ZN12_GLOBAL__N_17runRingI12rccl_bfloat88FuncProdIS1_E7ProtoLLLi0ELi4ELi0EEEviiP15ncclDevWorkColl.numbered_sgpr, 44
	.set .L_ZN12_GLOBAL__N_17runRingI12rccl_bfloat88FuncProdIS1_E7ProtoLLLi0ELi4ELi0EEEviiP15ncclDevWorkColl.num_named_barrier, 0
	.set .L_ZN12_GLOBAL__N_17runRingI12rccl_bfloat88FuncProdIS1_E7ProtoLLLi0ELi4ELi0EEEviiP15ncclDevWorkColl.private_seg_size, 100
	.set .L_ZN12_GLOBAL__N_17runRingI12rccl_bfloat88FuncProdIS1_E7ProtoLLLi0ELi4ELi0EEEviiP15ncclDevWorkColl.uses_vcc, 1
	.set .L_ZN12_GLOBAL__N_17runRingI12rccl_bfloat88FuncProdIS1_E7ProtoLLLi0ELi4ELi0EEEviiP15ncclDevWorkColl.uses_flat_scratch, 1
	.set .L_ZN12_GLOBAL__N_17runRingI12rccl_bfloat88FuncProdIS1_E7ProtoLLLi0ELi4ELi0EEEviiP15ncclDevWorkColl.has_dyn_sized_stack, 0
	.set .L_ZN12_GLOBAL__N_17runRingI12rccl_bfloat88FuncProdIS1_E7ProtoLLLi0ELi4ELi0EEEviiP15ncclDevWorkColl.has_recursion, 0
	.set .L_ZN12_GLOBAL__N_17runRingI12rccl_bfloat88FuncProdIS1_E7ProtoLLLi0ELi4ELi0EEEviiP15ncclDevWorkColl.has_indirect_call, 0
	.section	.AMDGPU.csdata,"",@progbits
; Function info:
; codeLenInByte = 21936
; TotalNumSgprs: 46
; NumVgprs: 120
; ScratchSize: 100
; MemoryBound: 0
	.text
	.p2align	2                               ; -- Begin function _Z51ncclDevFunc_ReduceScatter_RING_LL_Prod_f8e5m2_0_0_4v
	.type	_Z51ncclDevFunc_ReduceScatter_RING_LL_Prod_f8e5m2_0_0_4v,@function
_Z51ncclDevFunc_ReduceScatter_RING_LL_Prod_f8e5m2_0_0_4v: ; @_Z51ncclDevFunc_ReduceScatter_RING_LL_Prod_f8e5m2_0_0_4v
; %bb.0:
	s_waitcnt vmcnt(0) expcnt(0) lgkmcnt(0)
	s_mov_b32 s57, s33
	s_mov_b32 s33, s32
	s_or_saveexec_b32 s4, -1
	buffer_store_dword v42, off, s[0:3], s33 offset:8 ; 4-byte Folded Spill
	s_mov_b32 exec_lo, s4
	s_addk_i32 s32, 0x200
	buffer_store_dword v40, off, s[0:3], s33 offset:4 ; 4-byte Folded Spill
	buffer_store_dword v41, off, s[0:3], s33 ; 4-byte Folded Spill
	v_writelane_b32 v42, s30, 0
	v_writelane_b32 v42, s31, 1
	s_trap 2
	ds_read_b32 v0, v0
	s_waitcnt lgkmcnt(0)
	v_cmp_gt_i32_e32 vcc_lo, 1, v0
	s_cbranch_vccnz .LBB5_8
; %bb.1:
	v_and_b32_e32 v40, 0x3ff, v31
	v_mov_b32_e32 v41, 5
	s_mov_b32 s46, s12
	s_mov_b64 s[44:45], s[8:9]
	s_mov_b32 s47, 0
	s_inst_prefetch 0x1
	s_branch .LBB5_3
	.p2align	6
.LBB5_2:                                ;   in Loop: Header=BB5_3 Depth=1
	s_or_b32 exec_lo, exec_lo, s56
	s_trap 2
	ds_read_b32 v0, v0
	s_add_i32 s47, s47, 1
	s_waitcnt lgkmcnt(0)
	v_cmp_lt_i32_e32 vcc_lo, s47, v0
	s_cbranch_vccz .LBB5_8
.LBB5_3:                                ; =>This Inner Loop Header: Depth=1
	s_trap 2
	ds_read_b32 v0, v0
	s_cmp_eq_u32 s47, 0
	s_cbranch_scc1 .LBB5_6
; %bb.4:                                ;   in Loop: Header=BB5_3 Depth=1
	s_trap 2
	s_waitcnt lgkmcnt(0)
	ds_read_b32 v1, v0
	s_waitcnt lgkmcnt(0)
	v_xor_b32_e32 v1, v1, v0
	v_and_b32_e32 v1, 0xff0000, v1
	v_cmp_eq_u32_e32 vcc_lo, 0, v1
	s_cbranch_vccnz .LBB5_6
; %bb.5:                                ;   in Loop: Header=BB5_3 Depth=1
	s_waitcnt_vscnt null, 0x0
	s_barrier
	buffer_gl0_inv
	ds_read_b32 v0, v0
.LBB5_6:                                ;   in Loop: Header=BB5_3 Depth=1
	s_waitcnt lgkmcnt(0)
	v_lshlrev_b32_sdwa v1, v41, v0 dst_sel:DWORD dst_unused:UNUSED_PAD src0_sel:DWORD src1_sel:BYTE_2
	s_mov_b32 s56, exec_lo
	v_cmpx_lt_u32_e64 v40, v1
	s_cbranch_execz .LBB5_2
; %bb.7:                                ;   in Loop: Header=BB5_3 Depth=1
	s_mov_b64 s[4:5], src_shared_base
	v_mov_b32_e32 v0, v40
	v_mov_b32_e32 v3, s5
	s_getpc_b64 s[6:7]
	s_add_u32 s6, s6, _ZN12_GLOBAL__N_17runRingI12rccl_bfloat88FuncProdIS1_E7ProtoLLLi0ELi4ELi0EEEviiP15ncclDevWorkColl@rel32@lo+4
	s_addc_u32 s7, s7, _ZN12_GLOBAL__N_17runRingI12rccl_bfloat88FuncProdIS1_E7ProtoLLLi0ELi4ELi0EEEviiP15ncclDevWorkColl@rel32@hi+12
	s_mov_b64 s[8:9], s[44:45]
	s_mov_b32 s12, s46
	s_swappc_b64 s[30:31], s[6:7]
	s_branch .LBB5_2
.LBB5_8:
	s_inst_prefetch 0x2
	s_clause 0x1
	buffer_load_dword v41, off, s[0:3], s33
	buffer_load_dword v40, off, s[0:3], s33 offset:4
	v_readlane_b32 s30, v42, 0
	v_readlane_b32 s31, v42, 1
	s_mov_b32 s32, s33
	s_or_saveexec_b32 s4, -1
	buffer_load_dword v42, off, s[0:3], s33 offset:8 ; 4-byte Folded Reload
	s_mov_b32 exec_lo, s4
	s_mov_b32 s33, s57
	s_waitcnt vmcnt(0)
	s_setpc_b64 s[30:31]
.Lfunc_end5:
	.size	_Z51ncclDevFunc_ReduceScatter_RING_LL_Prod_f8e5m2_0_0_4v, .Lfunc_end5-_Z51ncclDevFunc_ReduceScatter_RING_LL_Prod_f8e5m2_0_0_4v
                                        ; -- End function
	.set .L_Z51ncclDevFunc_ReduceScatter_RING_LL_Prod_f8e5m2_0_0_4v.num_vgpr, max(43, .L_ZN12_GLOBAL__N_17runRingI12rccl_bfloat88FuncProdIS1_E7ProtoLLLi0ELi4ELi0EEEviiP15ncclDevWorkColl.num_vgpr)
	.set .L_Z51ncclDevFunc_ReduceScatter_RING_LL_Prod_f8e5m2_0_0_4v.num_agpr, max(0, .L_ZN12_GLOBAL__N_17runRingI12rccl_bfloat88FuncProdIS1_E7ProtoLLLi0ELi4ELi0EEEviiP15ncclDevWorkColl.num_agpr)
	.set .L_Z51ncclDevFunc_ReduceScatter_RING_LL_Prod_f8e5m2_0_0_4v.numbered_sgpr, max(58, .L_ZN12_GLOBAL__N_17runRingI12rccl_bfloat88FuncProdIS1_E7ProtoLLLi0ELi4ELi0EEEviiP15ncclDevWorkColl.numbered_sgpr)
	.set .L_Z51ncclDevFunc_ReduceScatter_RING_LL_Prod_f8e5m2_0_0_4v.num_named_barrier, max(0, .L_ZN12_GLOBAL__N_17runRingI12rccl_bfloat88FuncProdIS1_E7ProtoLLLi0ELi4ELi0EEEviiP15ncclDevWorkColl.num_named_barrier)
	.set .L_Z51ncclDevFunc_ReduceScatter_RING_LL_Prod_f8e5m2_0_0_4v.private_seg_size, 16+max(.L_ZN12_GLOBAL__N_17runRingI12rccl_bfloat88FuncProdIS1_E7ProtoLLLi0ELi4ELi0EEEviiP15ncclDevWorkColl.private_seg_size)
	.set .L_Z51ncclDevFunc_ReduceScatter_RING_LL_Prod_f8e5m2_0_0_4v.uses_vcc, or(1, .L_ZN12_GLOBAL__N_17runRingI12rccl_bfloat88FuncProdIS1_E7ProtoLLLi0ELi4ELi0EEEviiP15ncclDevWorkColl.uses_vcc)
	.set .L_Z51ncclDevFunc_ReduceScatter_RING_LL_Prod_f8e5m2_0_0_4v.uses_flat_scratch, or(0, .L_ZN12_GLOBAL__N_17runRingI12rccl_bfloat88FuncProdIS1_E7ProtoLLLi0ELi4ELi0EEEviiP15ncclDevWorkColl.uses_flat_scratch)
	.set .L_Z51ncclDevFunc_ReduceScatter_RING_LL_Prod_f8e5m2_0_0_4v.has_dyn_sized_stack, or(0, .L_ZN12_GLOBAL__N_17runRingI12rccl_bfloat88FuncProdIS1_E7ProtoLLLi0ELi4ELi0EEEviiP15ncclDevWorkColl.has_dyn_sized_stack)
	.set .L_Z51ncclDevFunc_ReduceScatter_RING_LL_Prod_f8e5m2_0_0_4v.has_recursion, or(1, .L_ZN12_GLOBAL__N_17runRingI12rccl_bfloat88FuncProdIS1_E7ProtoLLLi0ELi4ELi0EEEviiP15ncclDevWorkColl.has_recursion)
	.set .L_Z51ncclDevFunc_ReduceScatter_RING_LL_Prod_f8e5m2_0_0_4v.has_indirect_call, or(0, .L_ZN12_GLOBAL__N_17runRingI12rccl_bfloat88FuncProdIS1_E7ProtoLLLi0ELi4ELi0EEEviiP15ncclDevWorkColl.has_indirect_call)
	.section	.AMDGPU.csdata,"",@progbits
; Function info:
; codeLenInByte = 392
; TotalNumSgprs: 60
; NumVgprs: 120
; ScratchSize: 116
; MemoryBound: 0
	.text
	.p2alignl 6, 3214868480
	.fill 48, 4, 3214868480
	.section	.AMDGPU.gpr_maximums,"",@progbits
	.set amdgpu.max_num_vgpr, 120
	.set amdgpu.max_num_agpr, 0
	.set amdgpu.max_num_sgpr, 58
	.text
	.type	__hip_cuid_7001703e16014921,@object ; @__hip_cuid_7001703e16014921
	.section	.bss,"aw",@nobits
	.globl	__hip_cuid_7001703e16014921
__hip_cuid_7001703e16014921:
	.byte	0                               ; 0x0
	.size	__hip_cuid_7001703e16014921, 1

	.ident	"AMD clang version 22.0.0git (https://github.com/RadeonOpenCompute/llvm-project roc-7.2.4 26084 f58b06dce1f9c15707c5f808fd002e18c2accf7e)"
	.section	".note.GNU-stack","",@progbits
	.addrsig
	.addrsig_sym _Z51ncclDevFunc_ReduceScatter_RING_LL_Prod_f8e5m2_0_0_1v
	.addrsig_sym _Z51ncclDevFunc_ReduceScatter_RING_LL_Prod_f8e5m2_0_0_2v
	.addrsig_sym _Z51ncclDevFunc_ReduceScatter_RING_LL_Prod_f8e5m2_0_0_4v
	.addrsig_sym ncclShmem
	.addrsig_sym __hip_cuid_7001703e16014921
	.amdgpu_metadata
---
amdhsa.kernels:  []
amdhsa.target:   amdgcn-amd-amdhsa--gfx1030
amdhsa.version:
  - 1
  - 2
...

	.end_amdgpu_metadata
